;; amdgpu-corpus repo=ROCm/rccl kind=compiled arch=gfx1030 opt=O3
	.amdgcn_target "amdgcn-amd-amdhsa--gfx1030"
	.amdhsa_code_object_version 6
	.text
	.p2align	2                               ; -- Begin function __ockl_fprintf_append_string_n
	.type	__ockl_fprintf_append_string_n,@function
__ockl_fprintf_append_string_n:         ; @__ockl_fprintf_append_string_n
; %bb.0:
	s_waitcnt vmcnt(0) expcnt(0) lgkmcnt(0)
	v_or_b32_e32 v2, 2, v0
	v_cmp_eq_u32_e32 vcc_lo, 0, v6
	v_mbcnt_lo_u32_b32 v35, -1, 0
	s_getpc_b64 s[4:5]
	s_add_u32 s4, s4, .str.3@rel32@lo+4
	s_addc_u32 s5, s5, .str.3@rel32@hi+12
	s_mov_b32 s14, 0
	s_cmp_lg_u64 s[4:5], 0
	v_cndmask_b32_e32 v34, v2, v0, vcc_lo
	s_cbranch_scc0 .LBB0_113
; %bb.1:
	s_load_dwordx2 s[6:7], s[8:9], 0x50
	v_and_b32_e32 v0, -3, v34
	s_getpc_b64 s[4:5]
	s_add_u32 s4, s4, .str.3@rel32@lo+4
	s_addc_u32 s5, s5, .str.3@rel32@hi+12
	v_mov_b32_e32 v11, v1
	v_mov_b32_e32 v2, s4
	v_and_b32_e32 v36, 2, v34
	v_mov_b32_e32 v7, 0
	v_mov_b32_e32 v3, s5
	;; [unrolled: 1-line block ×5, first 2 shown]
	s_mov_b32 s15, 0
	s_branch .LBB0_3
.LBB0_2:                                ;   in Loop: Header=BB0_3 Depth=1
	s_or_b32 exec_lo, exec_lo, s12
	v_sub_co_u32 v4, vcc_lo, v4, v30
	v_sub_co_ci_u32_e64 v5, null, v5, v31, vcc_lo
	v_add_co_u32 v2, s4, v2, v30
	v_add_co_ci_u32_e64 v3, null, v3, v31, s4
	v_cmp_eq_u64_e32 vcc_lo, 0, v[4:5]
	s_or_b32 s15, vcc_lo, s15
	s_andn2_b32 exec_lo, exec_lo, s15
	s_cbranch_execz .LBB0_85
.LBB0_3:                                ; =>This Loop Header: Depth=1
                                        ;     Child Loop BB0_6 Depth 2
                                        ;     Child Loop BB0_14 Depth 2
	;; [unrolled: 1-line block ×11, first 2 shown]
	v_cmp_gt_u64_e32 vcc_lo, 56, v[4:5]
	s_mov_b32 s5, exec_lo
	v_cndmask_b32_e32 v31, 0, v5, vcc_lo
	v_cndmask_b32_e32 v30, 56, v4, vcc_lo
	v_add_co_u32 v16, vcc_lo, v2, 8
	v_add_co_ci_u32_e64 v17, null, 0, v3, vcc_lo
	v_cmpx_gt_u64_e32 8, v[4:5]
	s_xor_b32 s5, exec_lo, s5
	s_cbranch_execz .LBB0_9
; %bb.4:                                ;   in Loop: Header=BB0_3 Depth=1
	s_waitcnt vmcnt(0)
	v_mov_b32_e32 v12, 0
	v_mov_b32_e32 v13, 0
	s_mov_b32 s12, exec_lo
	v_cmpx_ne_u64_e32 0, v[4:5]
	s_cbranch_execz .LBB0_8
; %bb.5:                                ;   in Loop: Header=BB0_3 Depth=1
	v_lshlrev_b64 v[14:15], 3, v[30:31]
	v_mov_b32_e32 v12, 0
	v_mov_b32_e32 v16, v3
	;; [unrolled: 1-line block ×4, first 2 shown]
	s_mov_b64 s[10:11], 0
	s_mov_b32 s13, 0
	.p2align	6
.LBB0_6:                                ;   Parent Loop BB0_3 Depth=1
                                        ; =>  This Inner Loop Header: Depth=2
	global_load_ubyte v0, v[15:16], off
	v_mov_b32_e32 v18, s14
	v_add_co_u32 v15, vcc_lo, v15, 1
	v_add_co_ci_u32_e64 v16, null, 0, v16, vcc_lo
	s_waitcnt vmcnt(0)
	v_and_b32_e32 v17, 0xffff, v0
	v_lshlrev_b64 v[17:18], s10, v[17:18]
	s_add_u32 s10, s10, 8
	s_addc_u32 s11, s11, 0
	v_cmp_eq_u32_e64 s4, s10, v14
	v_or_b32_e32 v13, v18, v13
	v_or_b32_e32 v12, v17, v12
	s_or_b32 s13, s4, s13
	s_andn2_b32 exec_lo, exec_lo, s13
	s_cbranch_execnz .LBB0_6
; %bb.7:                                ;   in Loop: Header=BB0_3 Depth=1
	s_or_b32 exec_lo, exec_lo, s13
.LBB0_8:                                ;   in Loop: Header=BB0_3 Depth=1
	s_or_b32 exec_lo, exec_lo, s12
	v_mov_b32_e32 v17, v3
	v_mov_b32_e32 v16, v2
.LBB0_9:                                ;   in Loop: Header=BB0_3 Depth=1
	s_or_saveexec_b32 s4, s5
	v_mov_b32_e32 v0, 0
	s_xor_b32 exec_lo, exec_lo, s4
	s_cbranch_execz .LBB0_11
; %bb.10:                               ;   in Loop: Header=BB0_3 Depth=1
	global_load_dwordx2 v[12:13], v[2:3], off
	v_add_nc_u32_e32 v0, -8, v30
.LBB0_11:                               ;   in Loop: Header=BB0_3 Depth=1
	s_or_b32 exec_lo, exec_lo, s4
	v_add_co_u32 v18, s4, v16, 8
	v_add_co_ci_u32_e64 v19, null, 0, v17, s4
                                        ; implicit-def: $vgpr14_vgpr15
	s_mov_b32 s4, exec_lo
	v_cmpx_gt_u32_e32 8, v0
	s_xor_b32 s12, exec_lo, s4
	s_cbranch_execz .LBB0_17
; %bb.12:                               ;   in Loop: Header=BB0_3 Depth=1
	v_mov_b32_e32 v14, 0
	v_mov_b32_e32 v15, 0
	s_mov_b32 s13, exec_lo
	v_cmpx_ne_u32_e32 0, v0
	s_cbranch_execz .LBB0_16
; %bb.13:                               ;   in Loop: Header=BB0_3 Depth=1
	v_mov_b32_e32 v14, 0
	v_mov_b32_e32 v15, 0
	s_mov_b64 s[4:5], 0
	s_mov_b32 s16, 0
	s_mov_b64 s[10:11], 0
	.p2align	6
.LBB0_14:                               ;   Parent Loop BB0_3 Depth=1
                                        ; =>  This Inner Loop Header: Depth=2
	v_add_co_u32 v18, vcc_lo, v16, s10
	v_add_co_ci_u32_e64 v19, null, s11, v17, vcc_lo
	s_add_u32 s10, s10, 1
	s_addc_u32 s11, s11, 0
	v_cmp_eq_u32_e32 vcc_lo, s10, v0
	global_load_ubyte v6, v[18:19], off
	v_mov_b32_e32 v19, s14
	s_waitcnt vmcnt(0)
	v_and_b32_e32 v18, 0xffff, v6
	v_lshlrev_b64 v[18:19], s4, v[18:19]
	s_add_u32 s4, s4, 8
	s_addc_u32 s5, s5, 0
	s_or_b32 s16, vcc_lo, s16
	v_or_b32_e32 v15, v19, v15
	v_or_b32_e32 v14, v18, v14
	s_andn2_b32 exec_lo, exec_lo, s16
	s_cbranch_execnz .LBB0_14
; %bb.15:                               ;   in Loop: Header=BB0_3 Depth=1
	s_or_b32 exec_lo, exec_lo, s16
.LBB0_16:                               ;   in Loop: Header=BB0_3 Depth=1
	s_or_b32 exec_lo, exec_lo, s13
	v_mov_b32_e32 v19, v17
	v_mov_b32_e32 v18, v16
                                        ; implicit-def: $vgpr0
.LBB0_17:                               ;   in Loop: Header=BB0_3 Depth=1
	s_or_saveexec_b32 s4, s12
	v_mov_b32_e32 v6, 0
	s_xor_b32 exec_lo, exec_lo, s4
	s_cbranch_execz .LBB0_19
; %bb.18:                               ;   in Loop: Header=BB0_3 Depth=1
	global_load_dwordx2 v[14:15], v[16:17], off
	v_add_nc_u32_e32 v6, -8, v0
.LBB0_19:                               ;   in Loop: Header=BB0_3 Depth=1
	s_or_b32 exec_lo, exec_lo, s4
	v_add_co_u32 v20, s4, v18, 8
	v_add_co_ci_u32_e64 v21, null, 0, v19, s4
	s_mov_b32 s4, exec_lo
	v_cmpx_gt_u32_e32 8, v6
	s_xor_b32 s12, exec_lo, s4
	s_cbranch_execz .LBB0_25
; %bb.20:                               ;   in Loop: Header=BB0_3 Depth=1
	v_mov_b32_e32 v16, 0
	v_mov_b32_e32 v17, 0
	s_mov_b32 s13, exec_lo
	v_cmpx_ne_u32_e32 0, v6
	s_cbranch_execz .LBB0_24
; %bb.21:                               ;   in Loop: Header=BB0_3 Depth=1
	v_mov_b32_e32 v16, 0
	v_mov_b32_e32 v17, 0
	s_mov_b64 s[4:5], 0
	s_mov_b32 s16, 0
	s_mov_b64 s[10:11], 0
	.p2align	6
.LBB0_22:                               ;   Parent Loop BB0_3 Depth=1
                                        ; =>  This Inner Loop Header: Depth=2
	v_add_co_u32 v20, vcc_lo, v18, s10
	v_add_co_ci_u32_e64 v21, null, s11, v19, vcc_lo
	s_add_u32 s10, s10, 1
	s_addc_u32 s11, s11, 0
	v_cmp_eq_u32_e32 vcc_lo, s10, v6
	global_load_ubyte v0, v[20:21], off
	v_mov_b32_e32 v21, s14
	s_waitcnt vmcnt(0)
	v_and_b32_e32 v20, 0xffff, v0
	v_lshlrev_b64 v[20:21], s4, v[20:21]
	s_add_u32 s4, s4, 8
	s_addc_u32 s5, s5, 0
	s_or_b32 s16, vcc_lo, s16
	v_or_b32_e32 v17, v21, v17
	v_or_b32_e32 v16, v20, v16
	s_andn2_b32 exec_lo, exec_lo, s16
	s_cbranch_execnz .LBB0_22
; %bb.23:                               ;   in Loop: Header=BB0_3 Depth=1
	s_or_b32 exec_lo, exec_lo, s16
.LBB0_24:                               ;   in Loop: Header=BB0_3 Depth=1
	s_or_b32 exec_lo, exec_lo, s13
	v_mov_b32_e32 v21, v19
	v_mov_b32_e32 v20, v18
                                        ; implicit-def: $vgpr6
.LBB0_25:                               ;   in Loop: Header=BB0_3 Depth=1
	s_or_saveexec_b32 s4, s12
	v_mov_b32_e32 v0, 0
	s_xor_b32 exec_lo, exec_lo, s4
	s_cbranch_execz .LBB0_27
; %bb.26:                               ;   in Loop: Header=BB0_3 Depth=1
	global_load_dwordx2 v[16:17], v[18:19], off
	v_add_nc_u32_e32 v0, -8, v6
.LBB0_27:                               ;   in Loop: Header=BB0_3 Depth=1
	s_or_b32 exec_lo, exec_lo, s4
	v_add_co_u32 v22, s4, v20, 8
	v_add_co_ci_u32_e64 v23, null, 0, v21, s4
                                        ; implicit-def: $vgpr18_vgpr19
	s_mov_b32 s4, exec_lo
	v_cmpx_gt_u32_e32 8, v0
	s_xor_b32 s12, exec_lo, s4
	s_cbranch_execz .LBB0_33
; %bb.28:                               ;   in Loop: Header=BB0_3 Depth=1
	v_mov_b32_e32 v18, 0
	v_mov_b32_e32 v19, 0
	s_mov_b32 s13, exec_lo
	v_cmpx_ne_u32_e32 0, v0
	s_cbranch_execz .LBB0_32
; %bb.29:                               ;   in Loop: Header=BB0_3 Depth=1
	v_mov_b32_e32 v18, 0
	v_mov_b32_e32 v19, 0
	s_mov_b64 s[4:5], 0
	s_mov_b32 s16, 0
	s_mov_b64 s[10:11], 0
	.p2align	6
.LBB0_30:                               ;   Parent Loop BB0_3 Depth=1
                                        ; =>  This Inner Loop Header: Depth=2
	v_add_co_u32 v22, vcc_lo, v20, s10
	v_add_co_ci_u32_e64 v23, null, s11, v21, vcc_lo
	s_add_u32 s10, s10, 1
	s_addc_u32 s11, s11, 0
	v_cmp_eq_u32_e32 vcc_lo, s10, v0
	global_load_ubyte v6, v[22:23], off
	v_mov_b32_e32 v23, s14
	s_waitcnt vmcnt(0)
	v_and_b32_e32 v22, 0xffff, v6
	v_lshlrev_b64 v[22:23], s4, v[22:23]
	s_add_u32 s4, s4, 8
	s_addc_u32 s5, s5, 0
	s_or_b32 s16, vcc_lo, s16
	v_or_b32_e32 v19, v23, v19
	v_or_b32_e32 v18, v22, v18
	s_andn2_b32 exec_lo, exec_lo, s16
	s_cbranch_execnz .LBB0_30
; %bb.31:                               ;   in Loop: Header=BB0_3 Depth=1
	s_or_b32 exec_lo, exec_lo, s16
.LBB0_32:                               ;   in Loop: Header=BB0_3 Depth=1
	s_or_b32 exec_lo, exec_lo, s13
	v_mov_b32_e32 v23, v21
	v_mov_b32_e32 v22, v20
                                        ; implicit-def: $vgpr0
.LBB0_33:                               ;   in Loop: Header=BB0_3 Depth=1
	s_or_saveexec_b32 s4, s12
	v_mov_b32_e32 v6, 0
	s_xor_b32 exec_lo, exec_lo, s4
	s_cbranch_execz .LBB0_35
; %bb.34:                               ;   in Loop: Header=BB0_3 Depth=1
	global_load_dwordx2 v[18:19], v[20:21], off
	v_add_nc_u32_e32 v6, -8, v0
.LBB0_35:                               ;   in Loop: Header=BB0_3 Depth=1
	s_or_b32 exec_lo, exec_lo, s4
	v_add_co_u32 v24, s4, v22, 8
	v_add_co_ci_u32_e64 v25, null, 0, v23, s4
	s_mov_b32 s4, exec_lo
	v_cmpx_gt_u32_e32 8, v6
	s_xor_b32 s12, exec_lo, s4
	s_cbranch_execz .LBB0_41
; %bb.36:                               ;   in Loop: Header=BB0_3 Depth=1
	v_mov_b32_e32 v20, 0
	v_mov_b32_e32 v21, 0
	s_mov_b32 s13, exec_lo
	v_cmpx_ne_u32_e32 0, v6
	s_cbranch_execz .LBB0_40
; %bb.37:                               ;   in Loop: Header=BB0_3 Depth=1
	v_mov_b32_e32 v20, 0
	v_mov_b32_e32 v21, 0
	s_mov_b64 s[4:5], 0
	s_mov_b32 s16, 0
	s_mov_b64 s[10:11], 0
	.p2align	6
.LBB0_38:                               ;   Parent Loop BB0_3 Depth=1
                                        ; =>  This Inner Loop Header: Depth=2
	v_add_co_u32 v24, vcc_lo, v22, s10
	v_add_co_ci_u32_e64 v25, null, s11, v23, vcc_lo
	s_add_u32 s10, s10, 1
	s_addc_u32 s11, s11, 0
	v_cmp_eq_u32_e32 vcc_lo, s10, v6
	global_load_ubyte v0, v[24:25], off
	v_mov_b32_e32 v25, s14
	s_waitcnt vmcnt(0)
	v_and_b32_e32 v24, 0xffff, v0
	v_lshlrev_b64 v[24:25], s4, v[24:25]
	s_add_u32 s4, s4, 8
	s_addc_u32 s5, s5, 0
	s_or_b32 s16, vcc_lo, s16
	v_or_b32_e32 v21, v25, v21
	v_or_b32_e32 v20, v24, v20
	s_andn2_b32 exec_lo, exec_lo, s16
	s_cbranch_execnz .LBB0_38
; %bb.39:                               ;   in Loop: Header=BB0_3 Depth=1
	s_or_b32 exec_lo, exec_lo, s16
.LBB0_40:                               ;   in Loop: Header=BB0_3 Depth=1
	s_or_b32 exec_lo, exec_lo, s13
	v_mov_b32_e32 v25, v23
	v_mov_b32_e32 v24, v22
                                        ; implicit-def: $vgpr6
.LBB0_41:                               ;   in Loop: Header=BB0_3 Depth=1
	s_or_saveexec_b32 s4, s12
	v_mov_b32_e32 v0, 0
	s_xor_b32 exec_lo, exec_lo, s4
	s_cbranch_execz .LBB0_43
; %bb.42:                               ;   in Loop: Header=BB0_3 Depth=1
	global_load_dwordx2 v[20:21], v[22:23], off
	v_add_nc_u32_e32 v0, -8, v6
.LBB0_43:                               ;   in Loop: Header=BB0_3 Depth=1
	s_or_b32 exec_lo, exec_lo, s4
	v_add_co_u32 v26, s4, v24, 8
	v_add_co_ci_u32_e64 v27, null, 0, v25, s4
                                        ; implicit-def: $vgpr22_vgpr23
	s_mov_b32 s4, exec_lo
	v_cmpx_gt_u32_e32 8, v0
	s_xor_b32 s12, exec_lo, s4
	s_cbranch_execz .LBB0_49
; %bb.44:                               ;   in Loop: Header=BB0_3 Depth=1
	v_mov_b32_e32 v22, 0
	v_mov_b32_e32 v23, 0
	s_mov_b32 s13, exec_lo
	v_cmpx_ne_u32_e32 0, v0
	s_cbranch_execz .LBB0_48
; %bb.45:                               ;   in Loop: Header=BB0_3 Depth=1
	v_mov_b32_e32 v22, 0
	v_mov_b32_e32 v23, 0
	s_mov_b64 s[4:5], 0
	s_mov_b32 s16, 0
	s_mov_b64 s[10:11], 0
	.p2align	6
.LBB0_46:                               ;   Parent Loop BB0_3 Depth=1
                                        ; =>  This Inner Loop Header: Depth=2
	v_add_co_u32 v26, vcc_lo, v24, s10
	v_add_co_ci_u32_e64 v27, null, s11, v25, vcc_lo
	s_add_u32 s10, s10, 1
	s_addc_u32 s11, s11, 0
	v_cmp_eq_u32_e32 vcc_lo, s10, v0
	global_load_ubyte v6, v[26:27], off
	v_mov_b32_e32 v27, s14
	s_waitcnt vmcnt(0)
	v_and_b32_e32 v26, 0xffff, v6
	v_lshlrev_b64 v[26:27], s4, v[26:27]
	s_add_u32 s4, s4, 8
	s_addc_u32 s5, s5, 0
	s_or_b32 s16, vcc_lo, s16
	v_or_b32_e32 v23, v27, v23
	v_or_b32_e32 v22, v26, v22
	s_andn2_b32 exec_lo, exec_lo, s16
	s_cbranch_execnz .LBB0_46
; %bb.47:                               ;   in Loop: Header=BB0_3 Depth=1
	s_or_b32 exec_lo, exec_lo, s16
.LBB0_48:                               ;   in Loop: Header=BB0_3 Depth=1
	s_or_b32 exec_lo, exec_lo, s13
	v_mov_b32_e32 v27, v25
	v_mov_b32_e32 v26, v24
                                        ; implicit-def: $vgpr0
.LBB0_49:                               ;   in Loop: Header=BB0_3 Depth=1
	s_or_saveexec_b32 s4, s12
	v_mov_b32_e32 v6, 0
	s_xor_b32 exec_lo, exec_lo, s4
	s_cbranch_execz .LBB0_51
; %bb.50:                               ;   in Loop: Header=BB0_3 Depth=1
	global_load_dwordx2 v[22:23], v[24:25], off
	v_add_nc_u32_e32 v6, -8, v0
.LBB0_51:                               ;   in Loop: Header=BB0_3 Depth=1
	s_or_b32 exec_lo, exec_lo, s4
	s_mov_b32 s4, exec_lo
	v_cmpx_gt_u32_e32 8, v6
	s_xor_b32 s10, exec_lo, s4
	s_cbranch_execz .LBB0_57
; %bb.52:                               ;   in Loop: Header=BB0_3 Depth=1
	v_mov_b32_e32 v24, 0
	v_mov_b32_e32 v25, 0
	s_mov_b32 s11, exec_lo
	v_cmpx_ne_u32_e32 0, v6
	s_cbranch_execz .LBB0_56
; %bb.53:                               ;   in Loop: Header=BB0_3 Depth=1
	v_mov_b32_e32 v24, 0
	v_mov_b32_e32 v25, 0
	s_mov_b64 s[4:5], 0
	s_mov_b32 s12, 0
	.p2align	6
.LBB0_54:                               ;   Parent Loop BB0_3 Depth=1
                                        ; =>  This Inner Loop Header: Depth=2
	global_load_ubyte v0, v[26:27], off
	v_mov_b32_e32 v29, s14
	v_add_nc_u32_e32 v6, -1, v6
	v_add_co_u32 v26, vcc_lo, v26, 1
	v_add_co_ci_u32_e64 v27, null, 0, v27, vcc_lo
	v_cmp_eq_u32_e32 vcc_lo, 0, v6
	s_waitcnt vmcnt(0)
	v_and_b32_e32 v28, 0xffff, v0
	v_lshlrev_b64 v[28:29], s4, v[28:29]
	s_add_u32 s4, s4, 8
	s_addc_u32 s5, s5, 0
	s_or_b32 s12, vcc_lo, s12
	v_or_b32_e32 v25, v29, v25
	v_or_b32_e32 v24, v28, v24
	s_andn2_b32 exec_lo, exec_lo, s12
	s_cbranch_execnz .LBB0_54
; %bb.55:                               ;   in Loop: Header=BB0_3 Depth=1
	s_or_b32 exec_lo, exec_lo, s12
.LBB0_56:                               ;   in Loop: Header=BB0_3 Depth=1
	s_or_b32 exec_lo, exec_lo, s11
                                        ; implicit-def: $vgpr26_vgpr27
.LBB0_57:                               ;   in Loop: Header=BB0_3 Depth=1
	s_andn2_saveexec_b32 s4, s10
	s_cbranch_execz .LBB0_59
; %bb.58:                               ;   in Loop: Header=BB0_3 Depth=1
	global_load_dwordx2 v[24:25], v[26:27], off
.LBB0_59:                               ;   in Loop: Header=BB0_3 Depth=1
	s_or_b32 exec_lo, exec_lo, s4
	v_readfirstlane_b32 s4, v35
	v_mov_b32_e32 v32, 0
	v_mov_b32_e32 v33, 0
	v_cmp_eq_u32_e64 s4, s4, v35
	s_and_saveexec_b32 s5, s4
	s_cbranch_execz .LBB0_65
; %bb.60:                               ;   in Loop: Header=BB0_3 Depth=1
	s_waitcnt lgkmcnt(0)
	global_load_dwordx2 v[28:29], v7, s[6:7] offset:24 glc dlc
	s_waitcnt vmcnt(0)
	buffer_gl1_inv
	buffer_gl0_inv
	s_clause 0x1
	global_load_dwordx2 v[26:27], v7, s[6:7] offset:40
	global_load_dwordx2 v[32:33], v7, s[6:7]
	s_mov_b32 s10, exec_lo
	s_waitcnt vmcnt(1)
	v_and_b32_e32 v0, v27, v29
	v_and_b32_e32 v6, v26, v28
	v_mul_lo_u32 v0, v0, 24
	v_mul_hi_u32 v26, v6, 24
	v_mul_lo_u32 v6, v6, 24
	v_add_nc_u32_e32 v0, v26, v0
	s_waitcnt vmcnt(0)
	v_add_co_u32 v26, vcc_lo, v32, v6
	v_add_co_ci_u32_e64 v27, null, v33, v0, vcc_lo
	global_load_dwordx2 v[26:27], v[26:27], off glc dlc
	s_waitcnt vmcnt(0)
	global_atomic_cmpswap_x2 v[32:33], v7, v[26:29], s[6:7] offset:24 glc
	s_waitcnt vmcnt(0)
	buffer_gl1_inv
	buffer_gl0_inv
	v_cmpx_ne_u64_e64 v[32:33], v[28:29]
	s_cbranch_execz .LBB0_64
; %bb.61:                               ;   in Loop: Header=BB0_3 Depth=1
	s_mov_b32 s11, 0
	.p2align	6
.LBB0_62:                               ;   Parent Loop BB0_3 Depth=1
                                        ; =>  This Inner Loop Header: Depth=2
	s_sleep 1
	s_clause 0x1
	global_load_dwordx2 v[26:27], v7, s[6:7] offset:40
	global_load_dwordx2 v[37:38], v7, s[6:7]
	v_mov_b32_e32 v28, v32
	v_mov_b32_e32 v29, v33
	s_waitcnt vmcnt(1)
	v_and_b32_e32 v0, v26, v28
	v_and_b32_e32 v6, v27, v29
	s_waitcnt vmcnt(0)
	v_mad_u64_u32 v[32:33], null, v0, 24, v[37:38]
	v_mov_b32_e32 v0, v33
	v_mad_u64_u32 v[26:27], null, v6, 24, v[0:1]
	v_mov_b32_e32 v33, v26
	global_load_dwordx2 v[26:27], v[32:33], off glc dlc
	s_waitcnt vmcnt(0)
	global_atomic_cmpswap_x2 v[32:33], v7, v[26:29], s[6:7] offset:24 glc
	s_waitcnt vmcnt(0)
	buffer_gl1_inv
	buffer_gl0_inv
	v_cmp_eq_u64_e32 vcc_lo, v[32:33], v[28:29]
	s_or_b32 s11, vcc_lo, s11
	s_andn2_b32 exec_lo, exec_lo, s11
	s_cbranch_execnz .LBB0_62
; %bb.63:                               ;   in Loop: Header=BB0_3 Depth=1
	s_or_b32 exec_lo, exec_lo, s11
.LBB0_64:                               ;   in Loop: Header=BB0_3 Depth=1
	s_or_b32 exec_lo, exec_lo, s10
.LBB0_65:                               ;   in Loop: Header=BB0_3 Depth=1
	s_or_b32 exec_lo, exec_lo, s5
	s_waitcnt lgkmcnt(0)
	s_clause 0x1
	global_load_dwordx2 v[37:38], v7, s[6:7] offset:40
	global_load_dwordx4 v[26:29], v7, s[6:7]
	v_readfirstlane_b32 s11, v33
	v_readfirstlane_b32 s10, v32
	s_mov_b32 s5, exec_lo
	s_waitcnt vmcnt(1)
	v_readfirstlane_b32 s12, v37
	v_readfirstlane_b32 s13, v38
	s_and_b64 s[12:13], s[12:13], s[10:11]
	s_mul_i32 s16, s13, 24
	s_mul_hi_u32 s17, s12, 24
	s_mul_i32 s18, s12, 24
	s_add_i32 s17, s17, s16
	s_waitcnt vmcnt(0)
	v_add_co_u32 v32, vcc_lo, v26, s18
	v_add_co_ci_u32_e64 v33, null, s17, v27, vcc_lo
	s_and_saveexec_b32 s16, s4
	s_cbranch_execz .LBB0_67
; %bb.66:                               ;   in Loop: Header=BB0_3 Depth=1
	v_mov_b32_e32 v6, s5
	global_store_dwordx4 v[32:33], v[6:9], off offset:8
.LBB0_67:                               ;   in Loop: Header=BB0_3 Depth=1
	s_or_b32 exec_lo, exec_lo, s16
	v_cmp_gt_u64_e32 vcc_lo, 57, v[4:5]
	s_lshl_b64 s[12:13], s[12:13], 12
	v_and_b32_e32 v10, 0xffffff1f, v10
	v_lshl_add_u32 v37, v30, 2, 28
	v_cndmask_b32_e32 v6, 0, v36, vcc_lo
	v_add_co_u32 v0, vcc_lo, v28, s12
	v_add_co_ci_u32_e64 v28, null, s13, v29, vcc_lo
	v_or_b32_e32 v6, v10, v6
	v_lshlrev_b32_e32 v29, 6, v35
	v_readfirstlane_b32 s12, v0
	v_readfirstlane_b32 s13, v28
	v_and_or_b32 v10, 0x1e0, v37, v6
	global_store_dwordx4 v29, v[14:17], s[12:13] offset:16
	global_store_dwordx4 v29, v[10:13], s[12:13]
	global_store_dwordx4 v29, v[18:21], s[12:13] offset:32
	global_store_dwordx4 v29, v[22:25], s[12:13] offset:48
	s_and_saveexec_b32 s5, s4
	s_cbranch_execz .LBB0_75
; %bb.68:                               ;   in Loop: Header=BB0_3 Depth=1
	s_clause 0x1
	global_load_dwordx2 v[18:19], v7, s[6:7] offset:32 glc dlc
	global_load_dwordx2 v[10:11], v7, s[6:7] offset:40
	v_mov_b32_e32 v16, s10
	v_mov_b32_e32 v17, s11
	s_waitcnt vmcnt(0)
	v_readfirstlane_b32 s12, v10
	v_readfirstlane_b32 s13, v11
	s_and_b64 s[12:13], s[12:13], s[10:11]
	s_mul_i32 s13, s13, 24
	s_mul_hi_u32 s16, s12, 24
	s_mul_i32 s12, s12, 24
	s_add_i32 s16, s16, s13
	v_add_co_u32 v14, vcc_lo, v26, s12
	v_add_co_ci_u32_e64 v15, null, s16, v27, vcc_lo
	s_mov_b32 s12, exec_lo
	global_store_dwordx2 v[14:15], v[18:19], off
	s_waitcnt_vscnt null, 0x0
	global_atomic_cmpswap_x2 v[12:13], v7, v[16:19], s[6:7] offset:32 glc
	s_waitcnt vmcnt(0)
	v_cmpx_ne_u64_e64 v[12:13], v[18:19]
	s_cbranch_execz .LBB0_71
; %bb.69:                               ;   in Loop: Header=BB0_3 Depth=1
	s_mov_b32 s13, 0
.LBB0_70:                               ;   Parent Loop BB0_3 Depth=1
                                        ; =>  This Inner Loop Header: Depth=2
	v_mov_b32_e32 v10, s10
	v_mov_b32_e32 v11, s11
	s_sleep 1
	global_store_dwordx2 v[14:15], v[12:13], off
	s_waitcnt_vscnt null, 0x0
	global_atomic_cmpswap_x2 v[10:11], v7, v[10:13], s[6:7] offset:32 glc
	s_waitcnt vmcnt(0)
	v_cmp_eq_u64_e32 vcc_lo, v[10:11], v[12:13]
	v_mov_b32_e32 v13, v11
	v_mov_b32_e32 v12, v10
	s_or_b32 s13, vcc_lo, s13
	s_andn2_b32 exec_lo, exec_lo, s13
	s_cbranch_execnz .LBB0_70
.LBB0_71:                               ;   in Loop: Header=BB0_3 Depth=1
	s_or_b32 exec_lo, exec_lo, s12
	global_load_dwordx2 v[10:11], v7, s[6:7] offset:16
	s_mov_b32 s13, exec_lo
	s_mov_b32 s12, exec_lo
	v_mbcnt_lo_u32_b32 v6, s13, 0
	v_cmpx_eq_u32_e32 0, v6
	s_cbranch_execz .LBB0_73
; %bb.72:                               ;   in Loop: Header=BB0_3 Depth=1
	s_bcnt1_i32_b32 s13, s13
	v_mov_b32_e32 v6, s13
	s_waitcnt vmcnt(0)
	global_atomic_add_x2 v[10:11], v[6:7], off offset:8
.LBB0_73:                               ;   in Loop: Header=BB0_3 Depth=1
	s_or_b32 exec_lo, exec_lo, s12
	s_waitcnt vmcnt(0)
	global_load_dwordx2 v[12:13], v[10:11], off offset:16
	s_waitcnt vmcnt(0)
	v_cmp_eq_u64_e32 vcc_lo, 0, v[12:13]
	s_cbranch_vccnz .LBB0_75
; %bb.74:                               ;   in Loop: Header=BB0_3 Depth=1
	global_load_dword v6, v[10:11], off offset:24
	s_waitcnt vmcnt(0)
	v_readfirstlane_b32 s12, v6
	s_waitcnt_vscnt null, 0x0
	global_store_dwordx2 v[12:13], v[6:7], off
	s_and_b32 m0, s12, 0x7fffff
	s_sendmsg sendmsg(MSG_INTERRUPT)
.LBB0_75:                               ;   in Loop: Header=BB0_3 Depth=1
	s_or_b32 exec_lo, exec_lo, s5
	v_add_co_u32 v10, vcc_lo, v0, v29
	v_add_co_ci_u32_e64 v11, null, 0, v28, vcc_lo
	s_branch .LBB0_79
	.p2align	6
.LBB0_76:                               ;   in Loop: Header=BB0_79 Depth=2
	s_or_b32 exec_lo, exec_lo, s5
	v_readfirstlane_b32 s5, v0
	s_cmp_eq_u32 s5, 0
	s_cbranch_scc1 .LBB0_78
; %bb.77:                               ;   in Loop: Header=BB0_79 Depth=2
	s_sleep 1
	s_cbranch_execnz .LBB0_79
	s_branch .LBB0_81
	.p2align	6
.LBB0_78:                               ;   in Loop: Header=BB0_3 Depth=1
	s_branch .LBB0_81
.LBB0_79:                               ;   Parent Loop BB0_3 Depth=1
                                        ; =>  This Inner Loop Header: Depth=2
	v_mov_b32_e32 v0, 1
	s_and_saveexec_b32 s5, s4
	s_cbranch_execz .LBB0_76
; %bb.80:                               ;   in Loop: Header=BB0_79 Depth=2
	global_load_dword v0, v[32:33], off offset:20 glc dlc
	s_waitcnt vmcnt(0)
	buffer_gl1_inv
	buffer_gl0_inv
	v_and_b32_e32 v0, 1, v0
	s_branch .LBB0_76
.LBB0_81:                               ;   in Loop: Header=BB0_3 Depth=1
	global_load_dwordx4 v[10:13], v[10:11], off
	s_and_saveexec_b32 s12, s4
	s_cbranch_execz .LBB0_2
; %bb.82:                               ;   in Loop: Header=BB0_3 Depth=1
	s_clause 0x2
	global_load_dwordx2 v[12:13], v7, s[6:7] offset:40
	global_load_dwordx2 v[20:21], v7, s[6:7] offset:24 glc dlc
	global_load_dwordx2 v[14:15], v7, s[6:7]
	s_waitcnt vmcnt(2)
	v_readfirstlane_b32 s16, v12
	v_readfirstlane_b32 s17, v13
	s_add_u32 s13, s16, 1
	s_addc_u32 s18, s17, 0
	s_add_u32 s4, s13, s10
	s_addc_u32 s5, s18, s11
	s_cmp_eq_u64 s[4:5], 0
	s_cselect_b32 s5, s18, s5
	s_cselect_b32 s4, s13, s4
	v_mov_b32_e32 v19, s5
	s_and_b64 s[10:11], s[4:5], s[16:17]
	v_mov_b32_e32 v18, s4
	s_mul_i32 s11, s11, 24
	s_mul_hi_u32 s13, s10, 24
	s_mul_i32 s10, s10, 24
	s_add_i32 s13, s13, s11
	s_waitcnt vmcnt(0)
	v_add_co_u32 v16, vcc_lo, v14, s10
	v_add_co_ci_u32_e64 v17, null, s13, v15, vcc_lo
	global_store_dwordx2 v[16:17], v[20:21], off
	s_waitcnt_vscnt null, 0x0
	global_atomic_cmpswap_x2 v[14:15], v7, v[18:21], s[6:7] offset:24 glc
	s_waitcnt vmcnt(0)
	v_cmp_ne_u64_e32 vcc_lo, v[14:15], v[20:21]
	s_and_b32 exec_lo, exec_lo, vcc_lo
	s_cbranch_execz .LBB0_2
; %bb.83:                               ;   in Loop: Header=BB0_3 Depth=1
	s_mov_b32 s10, 0
.LBB0_84:                               ;   Parent Loop BB0_3 Depth=1
                                        ; =>  This Inner Loop Header: Depth=2
	v_mov_b32_e32 v12, s4
	v_mov_b32_e32 v13, s5
	s_sleep 1
	global_store_dwordx2 v[16:17], v[14:15], off
	s_waitcnt_vscnt null, 0x0
	global_atomic_cmpswap_x2 v[12:13], v7, v[12:15], s[6:7] offset:24 glc
	s_waitcnt vmcnt(0)
	v_cmp_eq_u64_e32 vcc_lo, v[12:13], v[14:15]
	v_mov_b32_e32 v15, v13
	v_mov_b32_e32 v14, v12
	s_or_b32 s10, vcc_lo, s10
	s_andn2_b32 exec_lo, exec_lo, s10
	s_cbranch_execnz .LBB0_84
	s_branch .LBB0_2
.LBB0_85:
	s_or_b32 exec_lo, exec_lo, s15
	s_branch .LBB0_114
.LBB0_86:
	s_load_dwordx2 s[6:7], s[8:9], 0x50
	v_readfirstlane_b32 s4, v35
	v_mov_b32_e32 v8, 0
	v_mov_b32_e32 v9, 0
	v_cmp_eq_u32_e64 s4, s4, v35
	s_and_saveexec_b32 s5, s4
	s_cbranch_execz .LBB0_92
; %bb.87:
	v_mov_b32_e32 v0, 0
	s_mov_b32 s8, exec_lo
	s_waitcnt lgkmcnt(0)
	global_load_dwordx2 v[4:5], v0, s[6:7] offset:24 glc dlc
	s_waitcnt vmcnt(0)
	buffer_gl1_inv
	buffer_gl0_inv
	s_clause 0x1
	global_load_dwordx2 v[2:3], v0, s[6:7] offset:40
	global_load_dwordx2 v[6:7], v0, s[6:7]
	s_waitcnt vmcnt(1)
	v_and_b32_e32 v3, v3, v5
	v_and_b32_e32 v2, v2, v4
	v_mul_lo_u32 v3, v3, 24
	v_mul_hi_u32 v8, v2, 24
	v_mul_lo_u32 v2, v2, 24
	v_add_nc_u32_e32 v3, v8, v3
	s_waitcnt vmcnt(0)
	v_add_co_u32 v2, vcc_lo, v6, v2
	v_add_co_ci_u32_e64 v3, null, v7, v3, vcc_lo
	global_load_dwordx2 v[2:3], v[2:3], off glc dlc
	s_waitcnt vmcnt(0)
	global_atomic_cmpswap_x2 v[8:9], v0, v[2:5], s[6:7] offset:24 glc
	s_waitcnt vmcnt(0)
	buffer_gl1_inv
	buffer_gl0_inv
	v_cmpx_ne_u64_e64 v[8:9], v[4:5]
	s_cbranch_execz .LBB0_91
; %bb.88:
	s_mov_b32 s9, 0
	.p2align	6
.LBB0_89:                               ; =>This Inner Loop Header: Depth=1
	s_sleep 1
	s_clause 0x1
	global_load_dwordx2 v[2:3], v0, s[6:7] offset:40
	global_load_dwordx2 v[6:7], v0, s[6:7]
	v_mov_b32_e32 v4, v8
	v_mov_b32_e32 v5, v9
	s_waitcnt vmcnt(1)
	v_and_b32_e32 v2, v2, v4
	v_and_b32_e32 v3, v3, v5
	s_waitcnt vmcnt(0)
	v_mad_u64_u32 v[6:7], null, v2, 24, v[6:7]
	v_mov_b32_e32 v2, v7
	v_mad_u64_u32 v[2:3], null, v3, 24, v[2:3]
	v_mov_b32_e32 v7, v2
	global_load_dwordx2 v[2:3], v[6:7], off glc dlc
	s_waitcnt vmcnt(0)
	global_atomic_cmpswap_x2 v[8:9], v0, v[2:5], s[6:7] offset:24 glc
	s_waitcnt vmcnt(0)
	buffer_gl1_inv
	buffer_gl0_inv
	v_cmp_eq_u64_e32 vcc_lo, v[8:9], v[4:5]
	s_or_b32 s9, vcc_lo, s9
	s_andn2_b32 exec_lo, exec_lo, s9
	s_cbranch_execnz .LBB0_89
; %bb.90:
	s_or_b32 exec_lo, exec_lo, s9
.LBB0_91:
	s_or_b32 exec_lo, exec_lo, s8
.LBB0_92:
	s_or_b32 exec_lo, exec_lo, s5
	v_mov_b32_e32 v2, 0
	v_readfirstlane_b32 s9, v9
	v_readfirstlane_b32 s8, v8
	s_mov_b32 s5, exec_lo
	s_waitcnt lgkmcnt(0)
	s_clause 0x1
	global_load_dwordx2 v[10:11], v2, s[6:7] offset:40
	global_load_dwordx4 v[4:7], v2, s[6:7]
	s_waitcnt vmcnt(1)
	v_readfirstlane_b32 s10, v10
	v_readfirstlane_b32 s11, v11
	s_and_b64 s[10:11], s[10:11], s[8:9]
	s_mul_i32 s12, s11, 24
	s_mul_hi_u32 s13, s10, 24
	s_mul_i32 s14, s10, 24
	s_add_i32 s13, s13, s12
	s_waitcnt vmcnt(0)
	v_add_co_u32 v8, vcc_lo, v4, s14
	v_add_co_ci_u32_e64 v9, null, s13, v5, vcc_lo
	s_and_saveexec_b32 s12, s4
	s_cbranch_execz .LBB0_94
; %bb.93:
	v_mov_b32_e32 v10, s5
	v_mov_b32_e32 v11, v2
	v_mov_b32_e32 v12, 2
	v_mov_b32_e32 v13, 1
	global_store_dwordx4 v[8:9], v[10:13], off offset:8
.LBB0_94:
	s_or_b32 exec_lo, exec_lo, s12
	s_lshl_b64 s[10:11], s[10:11], 12
	s_mov_b32 s12, 0
	v_add_co_u32 v6, vcc_lo, v6, s10
	v_add_co_ci_u32_e64 v7, null, s11, v7, vcc_lo
	s_mov_b32 s13, s12
	s_mov_b32 s14, s12
	;; [unrolled: 1-line block ×3, first 2 shown]
	v_and_or_b32 v0, 0xffffff1f, v34, 32
	v_lshlrev_b32_e32 v14, 6, v35
	v_mov_b32_e32 v3, v2
	v_readfirstlane_b32 s10, v6
	v_readfirstlane_b32 s11, v7
	v_mov_b32_e32 v10, s12
	v_mov_b32_e32 v11, s13
	;; [unrolled: 1-line block ×4, first 2 shown]
	global_store_dwordx4 v14, v[0:3], s[10:11]
	global_store_dwordx4 v14, v[10:13], s[10:11] offset:16
	global_store_dwordx4 v14, v[10:13], s[10:11] offset:32
	;; [unrolled: 1-line block ×3, first 2 shown]
	s_and_saveexec_b32 s5, s4
	s_cbranch_execz .LBB0_102
; %bb.95:
	v_mov_b32_e32 v6, 0
	v_mov_b32_e32 v10, s8
	;; [unrolled: 1-line block ×3, first 2 shown]
	s_mov_b32 s10, exec_lo
	s_clause 0x1
	global_load_dwordx2 v[12:13], v6, s[6:7] offset:32 glc dlc
	global_load_dwordx2 v[0:1], v6, s[6:7] offset:40
	s_waitcnt vmcnt(0)
	v_and_b32_e32 v1, s9, v1
	v_and_b32_e32 v0, s8, v0
	v_mul_lo_u32 v1, v1, 24
	v_mul_hi_u32 v2, v0, 24
	v_mul_lo_u32 v0, v0, 24
	v_add_nc_u32_e32 v1, v2, v1
	v_add_co_u32 v4, vcc_lo, v4, v0
	v_add_co_ci_u32_e64 v5, null, v5, v1, vcc_lo
	global_store_dwordx2 v[4:5], v[12:13], off
	s_waitcnt_vscnt null, 0x0
	global_atomic_cmpswap_x2 v[2:3], v6, v[10:13], s[6:7] offset:32 glc
	s_waitcnt vmcnt(0)
	v_cmpx_ne_u64_e64 v[2:3], v[12:13]
	s_cbranch_execz .LBB0_98
; %bb.96:
	s_mov_b32 s11, 0
.LBB0_97:                               ; =>This Inner Loop Header: Depth=1
	v_mov_b32_e32 v0, s8
	v_mov_b32_e32 v1, s9
	s_sleep 1
	global_store_dwordx2 v[4:5], v[2:3], off
	s_waitcnt_vscnt null, 0x0
	global_atomic_cmpswap_x2 v[0:1], v6, v[0:3], s[6:7] offset:32 glc
	s_waitcnt vmcnt(0)
	v_cmp_eq_u64_e32 vcc_lo, v[0:1], v[2:3]
	v_mov_b32_e32 v3, v1
	v_mov_b32_e32 v2, v0
	s_or_b32 s11, vcc_lo, s11
	s_andn2_b32 exec_lo, exec_lo, s11
	s_cbranch_execnz .LBB0_97
.LBB0_98:
	s_or_b32 exec_lo, exec_lo, s10
	v_mov_b32_e32 v3, 0
	s_mov_b32 s11, exec_lo
	s_mov_b32 s10, exec_lo
	v_mbcnt_lo_u32_b32 v2, s11, 0
	global_load_dwordx2 v[0:1], v3, s[6:7] offset:16
	v_cmpx_eq_u32_e32 0, v2
	s_cbranch_execz .LBB0_100
; %bb.99:
	s_bcnt1_i32_b32 s11, s11
	v_mov_b32_e32 v2, s11
	s_waitcnt vmcnt(0)
	global_atomic_add_x2 v[0:1], v[2:3], off offset:8
.LBB0_100:
	s_or_b32 exec_lo, exec_lo, s10
	s_waitcnt vmcnt(0)
	global_load_dwordx2 v[2:3], v[0:1], off offset:16
	s_waitcnt vmcnt(0)
	v_cmp_eq_u64_e32 vcc_lo, 0, v[2:3]
	s_cbranch_vccnz .LBB0_102
; %bb.101:
	global_load_dword v0, v[0:1], off offset:24
	v_mov_b32_e32 v1, 0
	s_waitcnt vmcnt(0)
	v_readfirstlane_b32 s10, v0
	s_waitcnt_vscnt null, 0x0
	global_store_dwordx2 v[2:3], v[0:1], off
	s_and_b32 m0, s10, 0x7fffff
	s_sendmsg sendmsg(MSG_INTERRUPT)
.LBB0_102:
	s_or_b32 exec_lo, exec_lo, s5
	s_branch .LBB0_106
	.p2align	6
.LBB0_103:                              ;   in Loop: Header=BB0_106 Depth=1
	s_or_b32 exec_lo, exec_lo, s5
	v_readfirstlane_b32 s5, v0
	s_cmp_eq_u32 s5, 0
	s_cbranch_scc1 .LBB0_105
; %bb.104:                              ;   in Loop: Header=BB0_106 Depth=1
	s_sleep 1
	s_cbranch_execnz .LBB0_106
	s_branch .LBB0_108
	.p2align	6
.LBB0_105:
	s_branch .LBB0_108
.LBB0_106:                              ; =>This Inner Loop Header: Depth=1
	v_mov_b32_e32 v0, 1
	s_and_saveexec_b32 s5, s4
	s_cbranch_execz .LBB0_103
; %bb.107:                              ;   in Loop: Header=BB0_106 Depth=1
	global_load_dword v0, v[8:9], off offset:20 glc dlc
	s_waitcnt vmcnt(0)
	buffer_gl1_inv
	buffer_gl0_inv
	v_and_b32_e32 v0, 1, v0
	s_branch .LBB0_103
.LBB0_108:
	s_and_saveexec_b32 s10, s4
	s_cbranch_execz .LBB0_112
; %bb.109:
	v_mov_b32_e32 v6, 0
	s_clause 0x2
	global_load_dwordx2 v[0:1], v6, s[6:7] offset:40
	global_load_dwordx2 v[9:10], v6, s[6:7] offset:24 glc dlc
	global_load_dwordx2 v[2:3], v6, s[6:7]
	s_waitcnt vmcnt(2)
	v_readfirstlane_b32 s12, v0
	v_readfirstlane_b32 s13, v1
	s_add_u32 s11, s12, 1
	s_addc_u32 s14, s13, 0
	s_add_u32 s4, s11, s8
	s_addc_u32 s5, s14, s9
	s_cmp_eq_u64 s[4:5], 0
	s_cselect_b32 s5, s14, s5
	s_cselect_b32 s4, s11, s4
	v_mov_b32_e32 v8, s5
	s_and_b64 s[8:9], s[4:5], s[12:13]
	v_mov_b32_e32 v7, s4
	s_mul_i32 s9, s9, 24
	s_mul_hi_u32 s11, s8, 24
	s_mul_i32 s8, s8, 24
	s_add_i32 s11, s11, s9
	s_waitcnt vmcnt(0)
	v_add_co_u32 v4, vcc_lo, v2, s8
	v_add_co_ci_u32_e64 v5, null, s11, v3, vcc_lo
	global_store_dwordx2 v[4:5], v[9:10], off
	s_waitcnt_vscnt null, 0x0
	global_atomic_cmpswap_x2 v[2:3], v6, v[7:10], s[6:7] offset:24 glc
	s_waitcnt vmcnt(0)
	v_cmp_ne_u64_e32 vcc_lo, v[2:3], v[9:10]
	s_and_b32 exec_lo, exec_lo, vcc_lo
	s_cbranch_execz .LBB0_112
; %bb.110:
	s_mov_b32 s8, 0
.LBB0_111:                              ; =>This Inner Loop Header: Depth=1
	v_mov_b32_e32 v0, s4
	v_mov_b32_e32 v1, s5
	s_sleep 1
	global_store_dwordx2 v[4:5], v[2:3], off
	s_waitcnt_vscnt null, 0x0
	global_atomic_cmpswap_x2 v[0:1], v6, v[0:3], s[6:7] offset:24 glc
	s_waitcnt vmcnt(0)
	v_cmp_eq_u64_e32 vcc_lo, v[0:1], v[2:3]
	v_mov_b32_e32 v3, v1
	v_mov_b32_e32 v2, v0
	s_or_b32 s8, vcc_lo, s8
	s_andn2_b32 exec_lo, exec_lo, s8
	s_cbranch_execnz .LBB0_111
.LBB0_112:
	s_or_b32 exec_lo, exec_lo, s10
	s_waitcnt lgkmcnt(0)
	s_setpc_b64 s[30:31]
.LBB0_113:
	s_cbranch_execnz .LBB0_86
.LBB0_114:
	s_waitcnt vmcnt(0) lgkmcnt(0)
	s_setpc_b64 s[30:31]
.Lfunc_end0:
	.size	__ockl_fprintf_append_string_n, .Lfunc_end0-__ockl_fprintf_append_string_n
                                        ; -- End function
	.set .L__ockl_fprintf_append_string_n.num_vgpr, 39
	.set .L__ockl_fprintf_append_string_n.num_agpr, 0
	.set .L__ockl_fprintf_append_string_n.numbered_sgpr, 32
	.set .L__ockl_fprintf_append_string_n.num_named_barrier, 0
	.set .L__ockl_fprintf_append_string_n.private_seg_size, 0
	.set .L__ockl_fprintf_append_string_n.uses_vcc, 1
	.set .L__ockl_fprintf_append_string_n.uses_flat_scratch, 0
	.set .L__ockl_fprintf_append_string_n.has_dyn_sized_stack, 0
	.set .L__ockl_fprintf_append_string_n.has_recursion, 0
	.set .L__ockl_fprintf_append_string_n.has_indirect_call, 0
	.section	.AMDGPU.csdata,"",@progbits
; Function info:
; codeLenInByte = 4528
; TotalNumSgprs: 34
; NumVgprs: 39
; ScratchSize: 0
; MemoryBound: 0
	.text
	.p2align	2                               ; -- Begin function __assert_fail
	.type	__assert_fail,@function
__assert_fail:                          ; @__assert_fail
; %bb.0:
	s_waitcnt vmcnt(0) expcnt(0) lgkmcnt(0)
	s_mov_b32 s24, s33
	s_mov_b32 s33, s32
	s_xor_saveexec_b32 s4, -1
	buffer_store_dword v39, off, s[0:3], s33 offset:48 ; 4-byte Folded Spill
	s_mov_b32 exec_lo, s4
	v_writelane_b32 v39, s30, 0
	s_addk_i32 s32, 0x800
	v_writelane_b32 v39, s31, 1
	v_mov_b32_e32 v4, v0
	v_mov_b32_e32 v0, 0
	s_getpc_b64 s[4:5]
	s_add_u32 s4, s4, __const.__assert_fail.fmt@rel32@lo+35
	s_addc_u32 s5, s5, __const.__assert_fail.fmt@rel32@hi+43
	v_mbcnt_lo_u32_b32 v32, -1, 0
	v_mov_b32_e32 v6, 0
	v_mov_b32_e32 v5, v1
	global_load_dwordx4 v[8:11], v0, s[4:5]
	s_getpc_b64 s[4:5]
	s_add_u32 s4, s4, __const.__assert_fail.fmt@rel32@lo+4
	s_addc_u32 s5, s5, __const.__assert_fail.fmt@rel32@hi+12
	s_getpc_b64 s[6:7]
	s_add_u32 s6, s6, __const.__assert_fail.fmt@rel32@lo+20
	s_addc_u32 s7, s7, __const.__assert_fail.fmt@rel32@hi+28
	s_clause 0x1
	s_load_dwordx4 s[12:15], s[4:5], 0x0
	s_load_dwordx4 s[16:19], s[6:7], 0x0
	s_load_dwordx2 s[6:7], s[8:9], 0x50
	v_readfirstlane_b32 s4, v32
	v_mov_b32_e32 v7, 0
	v_cmp_eq_u32_e64 s4, s4, v32
	s_waitcnt lgkmcnt(0)
	v_mov_b32_e32 v1, s15
	v_mov_b32_e32 v2, s14
	;; [unrolled: 1-line block ×8, first 2 shown]
	buffer_store_dword v1, off, s[0:3], s33 offset:12
	buffer_store_dword v2, off, s[0:3], s33 offset:8
	;; [unrolled: 1-line block ×3, first 2 shown]
	buffer_store_dword v12, off, s[0:3], s33
	buffer_store_dword v13, off, s[0:3], s33 offset:28
	buffer_store_dword v14, off, s[0:3], s33 offset:24
	;; [unrolled: 1-line block ×4, first 2 shown]
	s_waitcnt vmcnt(0)
	buffer_store_dword v11, off, s[0:3], s33 offset:43
	buffer_store_dword v10, off, s[0:3], s33 offset:39
	;; [unrolled: 1-line block ×4, first 2 shown]
	s_and_saveexec_b32 s5, s4
	s_cbranch_execz .LBB1_6
; %bb.1:
	global_load_dwordx2 v[8:9], v0, s[6:7] offset:24 glc dlc
	s_waitcnt vmcnt(0)
	buffer_gl1_inv
	buffer_gl0_inv
	s_clause 0x1
	global_load_dwordx2 v[1:2], v0, s[6:7] offset:40
	global_load_dwordx2 v[6:7], v0, s[6:7]
	s_mov_b32 s10, exec_lo
	s_waitcnt vmcnt(1)
	v_and_b32_e32 v2, v2, v9
	v_and_b32_e32 v1, v1, v8
	v_mul_lo_u32 v2, v2, 24
	v_mul_hi_u32 v3, v1, 24
	v_mul_lo_u32 v1, v1, 24
	v_add_nc_u32_e32 v2, v3, v2
	s_waitcnt vmcnt(0)
	v_add_co_u32 v1, vcc_lo, v6, v1
	v_add_co_ci_u32_e64 v2, null, v7, v2, vcc_lo
	global_load_dwordx2 v[6:7], v[1:2], off glc dlc
	s_waitcnt vmcnt(0)
	global_atomic_cmpswap_x2 v[6:7], v0, v[6:9], s[6:7] offset:24 glc
	s_waitcnt vmcnt(0)
	buffer_gl1_inv
	buffer_gl0_inv
	v_cmpx_ne_u64_e64 v[6:7], v[8:9]
	s_cbranch_execz .LBB1_5
; %bb.2:
	v_mov_b32_e32 v1, 0
	s_mov_b32 s11, 0
	.p2align	6
.LBB1_3:                                ; =>This Inner Loop Header: Depth=1
	s_sleep 1
	s_clause 0x1
	global_load_dwordx2 v[2:3], v1, s[6:7] offset:40
	global_load_dwordx2 v[10:11], v1, s[6:7]
	v_mov_b32_e32 v9, v7
	v_mov_b32_e32 v8, v6
	s_waitcnt vmcnt(1)
	v_and_b32_e32 v2, v2, v8
	v_and_b32_e32 v3, v3, v9
	s_waitcnt vmcnt(0)
	v_mad_u64_u32 v[6:7], null, v2, 24, v[10:11]
	v_mov_b32_e32 v2, v7
	v_mad_u64_u32 v[2:3], null, v3, 24, v[2:3]
	v_mov_b32_e32 v7, v2
	global_load_dwordx2 v[6:7], v[6:7], off glc dlc
	s_waitcnt vmcnt(0)
	global_atomic_cmpswap_x2 v[6:7], v1, v[6:9], s[6:7] offset:24 glc
	s_waitcnt vmcnt(0)
	buffer_gl1_inv
	buffer_gl0_inv
	v_cmp_eq_u64_e32 vcc_lo, v[6:7], v[8:9]
	s_or_b32 s11, vcc_lo, s11
	s_andn2_b32 exec_lo, exec_lo, s11
	s_cbranch_execnz .LBB1_3
; %bb.4:
	s_or_b32 exec_lo, exec_lo, s11
.LBB1_5:
	s_or_b32 exec_lo, exec_lo, s10
.LBB1_6:
	s_or_b32 exec_lo, exec_lo, s5
	s_clause 0x1
	global_load_dwordx2 v[8:9], v0, s[6:7] offset:40
	global_load_dwordx4 v[0:3], v0, s[6:7]
	v_readfirstlane_b32 s11, v7
	v_readfirstlane_b32 s10, v6
	s_mov_b32 s5, exec_lo
	s_waitcnt vmcnt(1)
	v_readfirstlane_b32 s12, v8
	v_readfirstlane_b32 s13, v9
	s_and_b64 s[12:13], s[12:13], s[10:11]
	s_mul_i32 s14, s13, 24
	s_mul_hi_u32 s15, s12, 24
	s_mul_i32 s16, s12, 24
	s_add_i32 s15, s15, s14
	s_waitcnt vmcnt(0)
	v_add_co_u32 v10, vcc_lo, v0, s16
	v_add_co_ci_u32_e64 v11, null, s15, v1, vcc_lo
	s_and_saveexec_b32 s14, s4
	s_cbranch_execz .LBB1_8
; %bb.7:
	v_mov_b32_e32 v6, s5
	v_mov_b32_e32 v7, 0
	;; [unrolled: 1-line block ×4, first 2 shown]
	global_store_dwordx4 v[10:11], v[6:9], off offset:8
.LBB1_8:
	s_or_b32 exec_lo, exec_lo, s14
	s_lshl_b64 s[12:13], s[12:13], 12
	v_lshlrev_b32_e32 v33, 6, v32
	v_add_co_u32 v2, vcc_lo, v2, s12
	v_add_co_ci_u32_e64 v3, null, s13, v3, vcc_lo
	v_mov_b32_e32 v7, 0
	s_mov_b32 s12, 0
	v_add_co_u32 v12, vcc_lo, v2, v33
	s_mov_b32 s15, s12
	s_mov_b32 s13, s12
	;; [unrolled: 1-line block ×3, first 2 shown]
	v_mov_b32_e32 v6, 33
	v_mov_b32_e32 v8, 1
	;; [unrolled: 1-line block ×3, first 2 shown]
	v_readfirstlane_b32 s16, v2
	v_readfirstlane_b32 s17, v3
	v_mov_b32_e32 v17, s15
	v_add_co_ci_u32_e64 v13, null, 0, v3, vcc_lo
	v_mov_b32_e32 v16, s14
	v_mov_b32_e32 v15, s13
	;; [unrolled: 1-line block ×3, first 2 shown]
	global_store_dwordx4 v33, v[6:9], s[16:17]
	global_store_dwordx4 v33, v[14:17], s[16:17] offset:16
	global_store_dwordx4 v33, v[14:17], s[16:17] offset:32
	;; [unrolled: 1-line block ×3, first 2 shown]
	s_and_saveexec_b32 s5, s4
	s_cbranch_execz .LBB1_16
; %bb.9:
	s_clause 0x1
	global_load_dwordx2 v[16:17], v7, s[6:7] offset:32 glc dlc
	global_load_dwordx2 v[2:3], v7, s[6:7] offset:40
	v_mov_b32_e32 v14, s10
	v_mov_b32_e32 v15, s11
	s_mov_b32 s12, exec_lo
	s_waitcnt vmcnt(0)
	v_and_b32_e32 v3, s11, v3
	v_and_b32_e32 v2, s10, v2
	v_mul_lo_u32 v3, v3, 24
	v_mul_hi_u32 v6, v2, 24
	v_mul_lo_u32 v2, v2, 24
	v_add_nc_u32_e32 v3, v6, v3
	v_add_co_u32 v8, vcc_lo, v0, v2
	v_add_co_ci_u32_e64 v9, null, v1, v3, vcc_lo
	global_store_dwordx2 v[8:9], v[16:17], off
	s_waitcnt_vscnt null, 0x0
	global_atomic_cmpswap_x2 v[2:3], v7, v[14:17], s[6:7] offset:32 glc
	s_waitcnt vmcnt(0)
	v_cmpx_ne_u64_e64 v[2:3], v[16:17]
	s_cbranch_execz .LBB1_12
; %bb.10:
	v_mov_b32_e32 v6, 0
	s_mov_b32 s13, 0
.LBB1_11:                               ; =>This Inner Loop Header: Depth=1
	v_mov_b32_e32 v0, s10
	v_mov_b32_e32 v1, s11
	s_sleep 1
	global_store_dwordx2 v[8:9], v[2:3], off
	s_waitcnt_vscnt null, 0x0
	global_atomic_cmpswap_x2 v[0:1], v6, v[0:3], s[6:7] offset:32 glc
	s_waitcnt vmcnt(0)
	v_cmp_eq_u64_e32 vcc_lo, v[0:1], v[2:3]
	v_mov_b32_e32 v3, v1
	v_mov_b32_e32 v2, v0
	s_or_b32 s13, vcc_lo, s13
	s_andn2_b32 exec_lo, exec_lo, s13
	s_cbranch_execnz .LBB1_11
.LBB1_12:
	s_or_b32 exec_lo, exec_lo, s12
	v_mov_b32_e32 v3, 0
	s_mov_b32 s13, exec_lo
	s_mov_b32 s12, exec_lo
	v_mbcnt_lo_u32_b32 v2, s13, 0
	global_load_dwordx2 v[0:1], v3, s[6:7] offset:16
	v_cmpx_eq_u32_e32 0, v2
	s_cbranch_execz .LBB1_14
; %bb.13:
	s_bcnt1_i32_b32 s13, s13
	v_mov_b32_e32 v2, s13
	s_waitcnt vmcnt(0)
	global_atomic_add_x2 v[0:1], v[2:3], off offset:8
.LBB1_14:
	s_or_b32 exec_lo, exec_lo, s12
	s_waitcnt vmcnt(0)
	global_load_dwordx2 v[2:3], v[0:1], off offset:16
	s_waitcnt vmcnt(0)
	v_cmp_eq_u64_e32 vcc_lo, 0, v[2:3]
	s_cbranch_vccnz .LBB1_16
; %bb.15:
	global_load_dword v0, v[0:1], off offset:24
	v_mov_b32_e32 v1, 0
	s_waitcnt vmcnt(0)
	v_readfirstlane_b32 s12, v0
	s_waitcnt_vscnt null, 0x0
	global_store_dwordx2 v[2:3], v[0:1], off
	s_and_b32 m0, s12, 0x7fffff
	s_sendmsg sendmsg(MSG_INTERRUPT)
.LBB1_16:
	s_or_b32 exec_lo, exec_lo, s5
	s_branch .LBB1_20
	.p2align	6
.LBB1_17:                               ;   in Loop: Header=BB1_20 Depth=1
	s_or_b32 exec_lo, exec_lo, s5
	v_readfirstlane_b32 s5, v0
	s_cmp_eq_u32 s5, 0
	s_cbranch_scc1 .LBB1_19
; %bb.18:                               ;   in Loop: Header=BB1_20 Depth=1
	s_sleep 1
	s_cbranch_execnz .LBB1_20
	s_branch .LBB1_22
	.p2align	6
.LBB1_19:
	s_branch .LBB1_22
.LBB1_20:                               ; =>This Inner Loop Header: Depth=1
	v_mov_b32_e32 v0, 1
	s_and_saveexec_b32 s5, s4
	s_cbranch_execz .LBB1_17
; %bb.21:                               ;   in Loop: Header=BB1_20 Depth=1
	global_load_dword v0, v[10:11], off offset:20 glc dlc
	s_waitcnt vmcnt(0)
	buffer_gl1_inv
	buffer_gl0_inv
	v_and_b32_e32 v0, 1, v0
	s_branch .LBB1_17
.LBB1_22:
	global_load_dwordx2 v[6:7], v[12:13], off
	s_and_saveexec_b32 s12, s4
	s_cbranch_execz .LBB1_26
; %bb.23:
	v_mov_b32_e32 v10, 0
	s_clause 0x2
	global_load_dwordx2 v[0:1], v10, s[6:7] offset:40
	global_load_dwordx2 v[13:14], v10, s[6:7] offset:24 glc dlc
	global_load_dwordx2 v[2:3], v10, s[6:7]
	s_waitcnt vmcnt(2)
	v_readfirstlane_b32 s14, v0
	v_readfirstlane_b32 s15, v1
	s_add_u32 s13, s14, 1
	s_addc_u32 s16, s15, 0
	s_add_u32 s4, s13, s10
	s_addc_u32 s5, s16, s11
	s_cmp_eq_u64 s[4:5], 0
	s_cselect_b32 s5, s16, s5
	s_cselect_b32 s4, s13, s4
	v_mov_b32_e32 v12, s5
	s_and_b64 s[10:11], s[4:5], s[14:15]
	v_mov_b32_e32 v11, s4
	s_mul_i32 s11, s11, 24
	s_mul_hi_u32 s13, s10, 24
	s_mul_i32 s10, s10, 24
	s_add_i32 s13, s13, s11
	s_waitcnt vmcnt(0)
	v_add_co_u32 v8, vcc_lo, v2, s10
	v_add_co_ci_u32_e64 v9, null, s13, v3, vcc_lo
	global_store_dwordx2 v[8:9], v[13:14], off
	s_waitcnt_vscnt null, 0x0
	global_atomic_cmpswap_x2 v[2:3], v10, v[11:14], s[6:7] offset:24 glc
	s_waitcnt vmcnt(0)
	v_cmp_ne_u64_e32 vcc_lo, v[2:3], v[13:14]
	s_and_b32 exec_lo, exec_lo, vcc_lo
	s_cbranch_execz .LBB1_26
; %bb.24:
	s_mov_b32 s10, 0
.LBB1_25:                               ; =>This Inner Loop Header: Depth=1
	v_mov_b32_e32 v0, s4
	v_mov_b32_e32 v1, s5
	s_sleep 1
	global_store_dwordx2 v[8:9], v[2:3], off
	s_waitcnt_vscnt null, 0x0
	global_atomic_cmpswap_x2 v[0:1], v10, v[0:3], s[6:7] offset:24 glc
	s_waitcnt vmcnt(0)
	v_cmp_eq_u64_e32 vcc_lo, v[0:1], v[2:3]
	v_mov_b32_e32 v3, v1
	v_mov_b32_e32 v2, v0
	s_or_b32 s10, vcc_lo, s10
	s_andn2_b32 exec_lo, exec_lo, s10
	s_cbranch_execnz .LBB1_25
.LBB1_26:
	s_or_b32 exec_lo, exec_lo, s12
	s_lshr_b32 s5, s33, 5
	s_mov_b32 s4, 0
.LBB1_27:                               ; =>This Inner Loop Header: Depth=1
	v_mov_b32_e32 v0, s5
	s_add_i32 s5, s5, 1
	buffer_load_ubyte v0, v0, s[0:3], 0 offen
	s_waitcnt vmcnt(0)
	v_cmp_eq_u16_e32 vcc_lo, 0, v0
	v_mov_b32_e32 v0, s5
	s_or_b32 s4, vcc_lo, s4
	s_andn2_b32 exec_lo, exec_lo, s4
	s_cbranch_execnz .LBB1_27
; %bb.28:
	s_or_b32 exec_lo, exec_lo, s4
	s_lshr_b32 s4, s33, 5
	s_cmp_lg_u32 s4, -1
	s_cbranch_scc0 .LBB1_113
; %bb.29:
	v_lshrrev_b32_e64 v1, 5, s33
	v_and_b32_e32 v34, 2, v6
	v_mov_b32_e32 v9, 0
	v_lshrrev_b32_e64 v35, 5, s33
	v_mov_b32_e32 v10, 2
	v_subrev_nc_u32_e32 v28, v1, v0
	v_and_b32_e32 v0, -3, v6
	v_mov_b32_e32 v1, v7
	v_mov_b32_e32 v11, 1
	s_mov_b32 s15, 0
	v_ashrrev_i32_e32 v29, 31, v28
	s_mov_b32 s14, 0
	s_branch .LBB1_31
.LBB1_30:                               ;   in Loop: Header=BB1_31 Depth=1
	s_or_b32 exec_lo, exec_lo, s12
	v_sub_co_u32 v28, vcc_lo, v28, v36
	v_sub_co_ci_u32_e64 v29, null, v29, v26, vcc_lo
	v_add_nc_u32_e32 v35, v35, v36
	v_cmp_eq_u64_e32 vcc_lo, 0, v[28:29]
	s_or_b32 s14, vcc_lo, s14
	s_andn2_b32 exec_lo, exec_lo, s14
	s_cbranch_execz .LBB1_114
.LBB1_31:                               ; =>This Loop Header: Depth=1
                                        ;     Child Loop BB1_34 Depth 2
                                        ;     Child Loop BB1_42 Depth 2
	;; [unrolled: 1-line block ×11, first 2 shown]
	v_cmp_gt_u64_e32 vcc_lo, 56, v[28:29]
	v_add_nc_u32_e32 v14, 8, v35
	s_mov_b32 s5, exec_lo
	v_cndmask_b32_e32 v36, 56, v28, vcc_lo
	v_cmpx_gt_u64_e32 8, v[28:29]
	s_xor_b32 s5, exec_lo, s5
	s_cbranch_execz .LBB1_37
; %bb.32:                               ;   in Loop: Header=BB1_31 Depth=1
	v_mov_b32_e32 v2, 0
	v_mov_b32_e32 v3, 0
	s_mov_b32 s12, exec_lo
	v_cmpx_ne_u64_e32 0, v[28:29]
	s_cbranch_execz .LBB1_36
; %bb.33:                               ;   in Loop: Header=BB1_31 Depth=1
	v_mov_b32_e32 v2, 0
	v_mov_b32_e32 v3, 0
	s_mov_b64 s[10:11], 0
	s_mov_b32 s13, 0
	s_mov_b32 s16, 0
	.p2align	6
.LBB1_34:                               ;   Parent Loop BB1_31 Depth=1
                                        ; =>  This Inner Loop Header: Depth=2
	v_add_nc_u32_e32 v8, s16, v35
	v_mov_b32_e32 v13, s15
	s_add_i32 s16, s16, 1
	v_cmp_eq_u32_e64 s4, s16, v36
	buffer_load_ubyte v8, v8, s[0:3], 0 offen
	s_waitcnt vmcnt(0)
	v_and_b32_e32 v12, 0xffff, v8
	v_lshlrev_b64 v[12:13], s10, v[12:13]
	s_add_u32 s10, s10, 8
	s_addc_u32 s11, s11, 0
	s_or_b32 s13, s4, s13
	v_or_b32_e32 v3, v13, v3
	v_or_b32_e32 v2, v12, v2
	s_andn2_b32 exec_lo, exec_lo, s13
	s_cbranch_execnz .LBB1_34
; %bb.35:                               ;   in Loop: Header=BB1_31 Depth=1
	s_or_b32 exec_lo, exec_lo, s13
.LBB1_36:                               ;   in Loop: Header=BB1_31 Depth=1
	s_or_b32 exec_lo, exec_lo, s12
	v_mov_b32_e32 v14, v35
.LBB1_37:                               ;   in Loop: Header=BB1_31 Depth=1
	s_or_saveexec_b32 s4, s5
	v_mov_b32_e32 v15, 0
	s_xor_b32 exec_lo, exec_lo, s4
	s_cbranch_execz .LBB1_39
; %bb.38:                               ;   in Loop: Header=BB1_31 Depth=1
	s_clause 0x1
	buffer_load_dword v2, v35, s[0:3], 0 offen
	buffer_load_dword v3, v35, s[0:3], 0 offen offset:4
	v_add_nc_u32_e32 v15, -8, v36
.LBB1_39:                               ;   in Loop: Header=BB1_31 Depth=1
	s_or_b32 exec_lo, exec_lo, s4
	v_add_nc_u32_e32 v8, 8, v14
	s_mov_b32 s5, exec_lo
                                        ; implicit-def: $vgpr12_vgpr13
	v_cmpx_gt_u32_e32 8, v15
	s_xor_b32 s5, exec_lo, s5
	s_cbranch_execz .LBB1_45
; %bb.40:                               ;   in Loop: Header=BB1_31 Depth=1
	v_mov_b32_e32 v12, 0
	v_mov_b32_e32 v13, 0
	s_mov_b32 s12, exec_lo
	v_cmpx_ne_u32_e32 0, v15
	s_cbranch_execz .LBB1_44
; %bb.41:                               ;   in Loop: Header=BB1_31 Depth=1
	v_mov_b32_e32 v12, 0
	v_mov_b32_e32 v13, 0
	s_mov_b64 s[10:11], 0
	s_mov_b32 s13, 0
	s_mov_b32 s16, 0
	.p2align	6
.LBB1_42:                               ;   Parent Loop BB1_31 Depth=1
                                        ; =>  This Inner Loop Header: Depth=2
	v_add_nc_u32_e32 v8, s16, v14
	v_mov_b32_e32 v17, s15
	s_add_i32 s16, s16, 1
	v_cmp_eq_u32_e64 s4, s16, v15
	buffer_load_ubyte v8, v8, s[0:3], 0 offen
	s_waitcnt vmcnt(0)
	v_and_b32_e32 v16, 0xffff, v8
	v_lshlrev_b64 v[16:17], s10, v[16:17]
	s_add_u32 s10, s10, 8
	s_addc_u32 s11, s11, 0
	s_or_b32 s13, s4, s13
	v_or_b32_e32 v13, v17, v13
	v_or_b32_e32 v12, v16, v12
	s_andn2_b32 exec_lo, exec_lo, s13
	s_cbranch_execnz .LBB1_42
; %bb.43:                               ;   in Loop: Header=BB1_31 Depth=1
	s_or_b32 exec_lo, exec_lo, s13
.LBB1_44:                               ;   in Loop: Header=BB1_31 Depth=1
	s_or_b32 exec_lo, exec_lo, s12
	v_mov_b32_e32 v8, v14
                                        ; implicit-def: $vgpr15
.LBB1_45:                               ;   in Loop: Header=BB1_31 Depth=1
	s_or_saveexec_b32 s4, s5
	v_mov_b32_e32 v16, 0
	s_xor_b32 exec_lo, exec_lo, s4
	s_cbranch_execz .LBB1_47
; %bb.46:                               ;   in Loop: Header=BB1_31 Depth=1
	s_clause 0x1
	buffer_load_dword v12, v14, s[0:3], 0 offen
	buffer_load_dword v13, v14, s[0:3], 0 offen offset:4
	v_add_nc_u32_e32 v16, -8, v15
.LBB1_47:                               ;   in Loop: Header=BB1_31 Depth=1
	s_or_b32 exec_lo, exec_lo, s4
	v_add_nc_u32_e32 v18, 8, v8
	s_mov_b32 s5, exec_lo
	v_cmpx_gt_u32_e32 8, v16
	s_xor_b32 s5, exec_lo, s5
	s_cbranch_execz .LBB1_53
; %bb.48:                               ;   in Loop: Header=BB1_31 Depth=1
	v_mov_b32_e32 v14, 0
	v_mov_b32_e32 v15, 0
	s_mov_b32 s12, exec_lo
	v_cmpx_ne_u32_e32 0, v16
	s_cbranch_execz .LBB1_52
; %bb.49:                               ;   in Loop: Header=BB1_31 Depth=1
	v_mov_b32_e32 v14, 0
	v_mov_b32_e32 v15, 0
	s_mov_b64 s[10:11], 0
	s_mov_b32 s13, 0
	s_mov_b32 s16, 0
	.p2align	6
.LBB1_50:                               ;   Parent Loop BB1_31 Depth=1
                                        ; =>  This Inner Loop Header: Depth=2
	v_add_nc_u32_e32 v17, s16, v8
	v_mov_b32_e32 v18, s15
	s_add_i32 s16, s16, 1
	v_cmp_eq_u32_e64 s4, s16, v16
	buffer_load_ubyte v17, v17, s[0:3], 0 offen
	s_waitcnt vmcnt(0)
	v_and_b32_e32 v17, 0xffff, v17
	v_lshlrev_b64 v[17:18], s10, v[17:18]
	s_add_u32 s10, s10, 8
	s_addc_u32 s11, s11, 0
	s_or_b32 s13, s4, s13
	v_or_b32_e32 v15, v18, v15
	v_or_b32_e32 v14, v17, v14
	s_andn2_b32 exec_lo, exec_lo, s13
	s_cbranch_execnz .LBB1_50
; %bb.51:                               ;   in Loop: Header=BB1_31 Depth=1
	s_or_b32 exec_lo, exec_lo, s13
.LBB1_52:                               ;   in Loop: Header=BB1_31 Depth=1
	s_or_b32 exec_lo, exec_lo, s12
	v_mov_b32_e32 v18, v8
                                        ; implicit-def: $vgpr16
.LBB1_53:                               ;   in Loop: Header=BB1_31 Depth=1
	s_or_saveexec_b32 s4, s5
	v_mov_b32_e32 v19, 0
	s_xor_b32 exec_lo, exec_lo, s4
	s_cbranch_execz .LBB1_55
; %bb.54:                               ;   in Loop: Header=BB1_31 Depth=1
	s_clause 0x1
	buffer_load_dword v14, v8, s[0:3], 0 offen
	buffer_load_dword v15, v8, s[0:3], 0 offen offset:4
	v_add_nc_u32_e32 v19, -8, v16
.LBB1_55:                               ;   in Loop: Header=BB1_31 Depth=1
	s_or_b32 exec_lo, exec_lo, s4
	v_add_nc_u32_e32 v8, 8, v18
	s_mov_b32 s5, exec_lo
                                        ; implicit-def: $vgpr16_vgpr17
	v_cmpx_gt_u32_e32 8, v19
	s_xor_b32 s5, exec_lo, s5
	s_cbranch_execz .LBB1_61
; %bb.56:                               ;   in Loop: Header=BB1_31 Depth=1
	v_mov_b32_e32 v16, 0
	v_mov_b32_e32 v17, 0
	s_mov_b32 s12, exec_lo
	v_cmpx_ne_u32_e32 0, v19
	s_cbranch_execz .LBB1_60
; %bb.57:                               ;   in Loop: Header=BB1_31 Depth=1
	v_mov_b32_e32 v16, 0
	v_mov_b32_e32 v17, 0
	s_mov_b64 s[10:11], 0
	s_mov_b32 s13, 0
	s_mov_b32 s16, 0
	.p2align	6
.LBB1_58:                               ;   Parent Loop BB1_31 Depth=1
                                        ; =>  This Inner Loop Header: Depth=2
	v_add_nc_u32_e32 v8, s16, v18
	v_mov_b32_e32 v21, s15
	s_add_i32 s16, s16, 1
	v_cmp_eq_u32_e64 s4, s16, v19
	buffer_load_ubyte v8, v8, s[0:3], 0 offen
	s_waitcnt vmcnt(0)
	v_and_b32_e32 v20, 0xffff, v8
	v_lshlrev_b64 v[20:21], s10, v[20:21]
	s_add_u32 s10, s10, 8
	s_addc_u32 s11, s11, 0
	s_or_b32 s13, s4, s13
	v_or_b32_e32 v17, v21, v17
	v_or_b32_e32 v16, v20, v16
	s_andn2_b32 exec_lo, exec_lo, s13
	s_cbranch_execnz .LBB1_58
; %bb.59:                               ;   in Loop: Header=BB1_31 Depth=1
	s_or_b32 exec_lo, exec_lo, s13
.LBB1_60:                               ;   in Loop: Header=BB1_31 Depth=1
	s_or_b32 exec_lo, exec_lo, s12
	v_mov_b32_e32 v8, v18
                                        ; implicit-def: $vgpr19
.LBB1_61:                               ;   in Loop: Header=BB1_31 Depth=1
	s_or_saveexec_b32 s4, s5
	v_mov_b32_e32 v20, 0
	s_xor_b32 exec_lo, exec_lo, s4
	s_cbranch_execz .LBB1_63
; %bb.62:                               ;   in Loop: Header=BB1_31 Depth=1
	s_clause 0x1
	buffer_load_dword v16, v18, s[0:3], 0 offen
	buffer_load_dword v17, v18, s[0:3], 0 offen offset:4
	v_add_nc_u32_e32 v20, -8, v19
.LBB1_63:                               ;   in Loop: Header=BB1_31 Depth=1
	s_or_b32 exec_lo, exec_lo, s4
	v_add_nc_u32_e32 v22, 8, v8
	s_mov_b32 s5, exec_lo
	v_cmpx_gt_u32_e32 8, v20
	s_xor_b32 s5, exec_lo, s5
	s_cbranch_execz .LBB1_69
; %bb.64:                               ;   in Loop: Header=BB1_31 Depth=1
	v_mov_b32_e32 v18, 0
	v_mov_b32_e32 v19, 0
	s_mov_b32 s12, exec_lo
	v_cmpx_ne_u32_e32 0, v20
	s_cbranch_execz .LBB1_68
; %bb.65:                               ;   in Loop: Header=BB1_31 Depth=1
	v_mov_b32_e32 v18, 0
	v_mov_b32_e32 v19, 0
	s_mov_b64 s[10:11], 0
	s_mov_b32 s13, 0
	s_mov_b32 s16, 0
	.p2align	6
.LBB1_66:                               ;   Parent Loop BB1_31 Depth=1
                                        ; =>  This Inner Loop Header: Depth=2
	v_add_nc_u32_e32 v21, s16, v8
	v_mov_b32_e32 v22, s15
	s_add_i32 s16, s16, 1
	v_cmp_eq_u32_e64 s4, s16, v20
	buffer_load_ubyte v21, v21, s[0:3], 0 offen
	s_waitcnt vmcnt(0)
	v_and_b32_e32 v21, 0xffff, v21
	v_lshlrev_b64 v[21:22], s10, v[21:22]
	s_add_u32 s10, s10, 8
	s_addc_u32 s11, s11, 0
	s_or_b32 s13, s4, s13
	v_or_b32_e32 v19, v22, v19
	v_or_b32_e32 v18, v21, v18
	s_andn2_b32 exec_lo, exec_lo, s13
	s_cbranch_execnz .LBB1_66
; %bb.67:                               ;   in Loop: Header=BB1_31 Depth=1
	s_or_b32 exec_lo, exec_lo, s13
.LBB1_68:                               ;   in Loop: Header=BB1_31 Depth=1
	s_or_b32 exec_lo, exec_lo, s12
	v_mov_b32_e32 v22, v8
                                        ; implicit-def: $vgpr20
.LBB1_69:                               ;   in Loop: Header=BB1_31 Depth=1
	s_or_saveexec_b32 s4, s5
	v_mov_b32_e32 v23, 0
	s_xor_b32 exec_lo, exec_lo, s4
	s_cbranch_execz .LBB1_71
; %bb.70:                               ;   in Loop: Header=BB1_31 Depth=1
	s_clause 0x1
	buffer_load_dword v18, v8, s[0:3], 0 offen
	buffer_load_dword v19, v8, s[0:3], 0 offen offset:4
	v_add_nc_u32_e32 v23, -8, v20
.LBB1_71:                               ;   in Loop: Header=BB1_31 Depth=1
	s_or_b32 exec_lo, exec_lo, s4
	v_add_nc_u32_e32 v8, 8, v22
	s_mov_b32 s5, exec_lo
                                        ; implicit-def: $vgpr20_vgpr21
	v_cmpx_gt_u32_e32 8, v23
	s_xor_b32 s5, exec_lo, s5
	s_cbranch_execz .LBB1_77
; %bb.72:                               ;   in Loop: Header=BB1_31 Depth=1
	v_mov_b32_e32 v20, 0
	v_mov_b32_e32 v21, 0
	s_mov_b32 s12, exec_lo
	v_cmpx_ne_u32_e32 0, v23
	s_cbranch_execz .LBB1_76
; %bb.73:                               ;   in Loop: Header=BB1_31 Depth=1
	v_mov_b32_e32 v20, 0
	v_mov_b32_e32 v21, 0
	s_mov_b64 s[10:11], 0
	s_mov_b32 s13, 0
	s_mov_b32 s16, 0
	.p2align	6
.LBB1_74:                               ;   Parent Loop BB1_31 Depth=1
                                        ; =>  This Inner Loop Header: Depth=2
	v_add_nc_u32_e32 v8, s16, v22
	v_mov_b32_e32 v25, s15
	s_add_i32 s16, s16, 1
	v_cmp_eq_u32_e64 s4, s16, v23
	buffer_load_ubyte v8, v8, s[0:3], 0 offen
	s_waitcnt vmcnt(0)
	v_and_b32_e32 v24, 0xffff, v8
	v_lshlrev_b64 v[24:25], s10, v[24:25]
	s_add_u32 s10, s10, 8
	s_addc_u32 s11, s11, 0
	s_or_b32 s13, s4, s13
	v_or_b32_e32 v21, v25, v21
	v_or_b32_e32 v20, v24, v20
	s_andn2_b32 exec_lo, exec_lo, s13
	s_cbranch_execnz .LBB1_74
; %bb.75:                               ;   in Loop: Header=BB1_31 Depth=1
	s_or_b32 exec_lo, exec_lo, s13
.LBB1_76:                               ;   in Loop: Header=BB1_31 Depth=1
	s_or_b32 exec_lo, exec_lo, s12
	v_mov_b32_e32 v8, v22
                                        ; implicit-def: $vgpr23
.LBB1_77:                               ;   in Loop: Header=BB1_31 Depth=1
	s_or_saveexec_b32 s4, s5
	v_mov_b32_e32 v24, 0
	s_xor_b32 exec_lo, exec_lo, s4
	s_cbranch_execz .LBB1_79
; %bb.78:                               ;   in Loop: Header=BB1_31 Depth=1
	s_clause 0x1
	buffer_load_dword v20, v22, s[0:3], 0 offen
	buffer_load_dword v21, v22, s[0:3], 0 offen offset:4
	v_add_nc_u32_e32 v24, -8, v23
.LBB1_79:                               ;   in Loop: Header=BB1_31 Depth=1
	s_or_b32 exec_lo, exec_lo, s4
	s_mov_b32 s5, exec_lo
	v_cmpx_gt_u32_e32 8, v24
	s_xor_b32 s5, exec_lo, s5
	s_cbranch_execz .LBB1_85
; %bb.80:                               ;   in Loop: Header=BB1_31 Depth=1
	v_mov_b32_e32 v22, 0
	v_mov_b32_e32 v23, 0
	s_mov_b32 s12, exec_lo
	v_cmpx_ne_u32_e32 0, v24
	s_cbranch_execz .LBB1_84
; %bb.81:                               ;   in Loop: Header=BB1_31 Depth=1
	v_mov_b32_e32 v22, 0
	v_mov_b32_e32 v23, 0
	s_mov_b64 s[10:11], 0
	s_mov_b32 s13, 0
	.p2align	6
.LBB1_82:                               ;   Parent Loop BB1_31 Depth=1
                                        ; =>  This Inner Loop Header: Depth=2
	buffer_load_ubyte v25, v8, s[0:3], 0 offen
	v_mov_b32_e32 v26, s15
	v_add_nc_u32_e32 v24, -1, v24
	v_add_nc_u32_e32 v8, 1, v8
	v_cmp_eq_u32_e64 s4, 0, v24
	s_waitcnt vmcnt(0)
	v_and_b32_e32 v25, 0xffff, v25
	v_lshlrev_b64 v[25:26], s10, v[25:26]
	s_add_u32 s10, s10, 8
	s_addc_u32 s11, s11, 0
	s_or_b32 s13, s4, s13
	v_or_b32_e32 v23, v26, v23
	v_or_b32_e32 v22, v25, v22
	s_andn2_b32 exec_lo, exec_lo, s13
	s_cbranch_execnz .LBB1_82
; %bb.83:                               ;   in Loop: Header=BB1_31 Depth=1
	s_or_b32 exec_lo, exec_lo, s13
.LBB1_84:                               ;   in Loop: Header=BB1_31 Depth=1
	s_or_b32 exec_lo, exec_lo, s12
                                        ; implicit-def: $vgpr8
.LBB1_85:                               ;   in Loop: Header=BB1_31 Depth=1
	s_andn2_saveexec_b32 s4, s5
	s_cbranch_execz .LBB1_87
; %bb.86:                               ;   in Loop: Header=BB1_31 Depth=1
	s_clause 0x1
	buffer_load_dword v22, v8, s[0:3], 0 offen
	buffer_load_dword v23, v8, s[0:3], 0 offen offset:4
.LBB1_87:                               ;   in Loop: Header=BB1_31 Depth=1
	s_or_b32 exec_lo, exec_lo, s4
	v_readfirstlane_b32 s4, v32
	v_mov_b32_e32 v30, 0
	v_mov_b32_e32 v31, 0
	v_cmp_eq_u32_e64 s4, s4, v32
	s_and_saveexec_b32 s10, s4
	s_cbranch_execz .LBB1_93
; %bb.88:                               ;   in Loop: Header=BB1_31 Depth=1
	global_load_dwordx2 v[26:27], v9, s[6:7] offset:24 glc dlc
	s_waitcnt vmcnt(0)
	buffer_gl1_inv
	buffer_gl0_inv
	s_clause 0x1
	global_load_dwordx2 v[24:25], v9, s[6:7] offset:40
	global_load_dwordx2 v[30:31], v9, s[6:7]
	s_mov_b32 s11, exec_lo
	s_waitcnt vmcnt(1)
	v_and_b32_e32 v8, v25, v27
	v_and_b32_e32 v24, v24, v26
	v_mul_lo_u32 v8, v8, 24
	v_mul_hi_u32 v25, v24, 24
	v_mul_lo_u32 v24, v24, 24
	v_add_nc_u32_e32 v8, v25, v8
	s_waitcnt vmcnt(0)
	v_add_co_u32 v24, s5, v30, v24
	v_add_co_ci_u32_e64 v25, null, v31, v8, s5
	global_load_dwordx2 v[24:25], v[24:25], off glc dlc
	s_waitcnt vmcnt(0)
	global_atomic_cmpswap_x2 v[30:31], v9, v[24:27], s[6:7] offset:24 glc
	s_waitcnt vmcnt(0)
	buffer_gl1_inv
	buffer_gl0_inv
	v_cmpx_ne_u64_e64 v[30:31], v[26:27]
	s_cbranch_execz .LBB1_92
; %bb.89:                               ;   in Loop: Header=BB1_31 Depth=1
	s_mov_b32 s12, 0
	.p2align	6
.LBB1_90:                               ;   Parent Loop BB1_31 Depth=1
                                        ; =>  This Inner Loop Header: Depth=2
	s_sleep 1
	s_clause 0x1
	global_load_dwordx2 v[24:25], v9, s[6:7] offset:40
	global_load_dwordx2 v[37:38], v9, s[6:7]
	v_mov_b32_e32 v26, v30
	v_mov_b32_e32 v27, v31
	s_waitcnt vmcnt(1)
	v_and_b32_e32 v8, v24, v26
	v_and_b32_e32 v24, v25, v27
	s_waitcnt vmcnt(0)
	v_mad_u64_u32 v[30:31], null, v8, 24, v[37:38]
	v_mov_b32_e32 v8, v31
	v_mad_u64_u32 v[24:25], null, v24, 24, v[8:9]
	v_mov_b32_e32 v31, v24
	global_load_dwordx2 v[24:25], v[30:31], off glc dlc
	s_waitcnt vmcnt(0)
	global_atomic_cmpswap_x2 v[30:31], v9, v[24:27], s[6:7] offset:24 glc
	s_waitcnt vmcnt(0)
	buffer_gl1_inv
	buffer_gl0_inv
	v_cmp_eq_u64_e64 s5, v[30:31], v[26:27]
	s_or_b32 s12, s5, s12
	s_andn2_b32 exec_lo, exec_lo, s12
	s_cbranch_execnz .LBB1_90
; %bb.91:                               ;   in Loop: Header=BB1_31 Depth=1
	s_or_b32 exec_lo, exec_lo, s12
.LBB1_92:                               ;   in Loop: Header=BB1_31 Depth=1
	s_or_b32 exec_lo, exec_lo, s11
.LBB1_93:                               ;   in Loop: Header=BB1_31 Depth=1
	s_or_b32 exec_lo, exec_lo, s10
	s_clause 0x1
	global_load_dwordx2 v[37:38], v9, s[6:7] offset:40
	global_load_dwordx4 v[24:27], v9, s[6:7]
	v_readfirstlane_b32 s11, v31
	v_readfirstlane_b32 s10, v30
	s_mov_b32 s16, exec_lo
	s_waitcnt vmcnt(1)
	v_readfirstlane_b32 s12, v37
	v_readfirstlane_b32 s13, v38
	s_and_b64 s[12:13], s[12:13], s[10:11]
	s_mul_i32 s5, s13, 24
	s_mul_hi_u32 s17, s12, 24
	s_mul_i32 s18, s12, 24
	s_add_i32 s17, s17, s5
	s_waitcnt vmcnt(0)
	v_add_co_u32 v30, s5, v24, s18
	v_add_co_ci_u32_e64 v31, null, s17, v25, s5
	s_and_saveexec_b32 s5, s4
	s_cbranch_execz .LBB1_95
; %bb.94:                               ;   in Loop: Header=BB1_31 Depth=1
	v_mov_b32_e32 v8, s16
	global_store_dwordx4 v[30:31], v[8:11], off offset:8
.LBB1_95:                               ;   in Loop: Header=BB1_31 Depth=1
	s_or_b32 exec_lo, exec_lo, s5
	v_cmp_gt_u64_e64 s5, 57, v[28:29]
	v_and_b32_e32 v0, 0xffffff1f, v0
	s_lshl_b64 s[12:13], s[12:13], 12
	v_cndmask_b32_e64 v8, 0, v34, s5
	v_add_co_u32 v37, s5, v26, s12
	v_add_co_ci_u32_e64 v27, null, s13, v27, s5
	v_lshl_add_u32 v26, v36, 2, 28
	v_or_b32_e32 v0, v0, v8
	v_readfirstlane_b32 s12, v37
	v_readfirstlane_b32 s13, v27
	v_and_or_b32 v0, 0x1e0, v26, v0
	v_cndmask_b32_e32 v26, 0, v29, vcc_lo
	global_store_dwordx4 v33, v[12:15], s[12:13] offset:16
	global_store_dwordx4 v33, v[0:3], s[12:13]
	global_store_dwordx4 v33, v[16:19], s[12:13] offset:32
	global_store_dwordx4 v33, v[20:23], s[12:13] offset:48
	s_and_saveexec_b32 s5, s4
	s_cbranch_execz .LBB1_103
; %bb.96:                               ;   in Loop: Header=BB1_31 Depth=1
	s_clause 0x1
	global_load_dwordx2 v[16:17], v9, s[6:7] offset:32 glc dlc
	global_load_dwordx2 v[0:1], v9, s[6:7] offset:40
	v_mov_b32_e32 v14, s10
	v_mov_b32_e32 v15, s11
	s_waitcnt vmcnt(0)
	v_readfirstlane_b32 s12, v0
	v_readfirstlane_b32 s13, v1
	s_and_b64 s[12:13], s[12:13], s[10:11]
	s_mul_i32 s13, s13, 24
	s_mul_hi_u32 s16, s12, 24
	s_mul_i32 s12, s12, 24
	s_add_i32 s16, s16, s13
	v_add_co_u32 v12, vcc_lo, v24, s12
	v_add_co_ci_u32_e64 v13, null, s16, v25, vcc_lo
	s_mov_b32 s12, exec_lo
	global_store_dwordx2 v[12:13], v[16:17], off
	s_waitcnt_vscnt null, 0x0
	global_atomic_cmpswap_x2 v[2:3], v9, v[14:17], s[6:7] offset:32 glc
	s_waitcnt vmcnt(0)
	v_cmpx_ne_u64_e64 v[2:3], v[16:17]
	s_cbranch_execz .LBB1_99
; %bb.97:                               ;   in Loop: Header=BB1_31 Depth=1
	s_mov_b32 s13, 0
.LBB1_98:                               ;   Parent Loop BB1_31 Depth=1
                                        ; =>  This Inner Loop Header: Depth=2
	v_mov_b32_e32 v0, s10
	v_mov_b32_e32 v1, s11
	s_sleep 1
	global_store_dwordx2 v[12:13], v[2:3], off
	s_waitcnt_vscnt null, 0x0
	global_atomic_cmpswap_x2 v[0:1], v9, v[0:3], s[6:7] offset:32 glc
	s_waitcnt vmcnt(0)
	v_cmp_eq_u64_e32 vcc_lo, v[0:1], v[2:3]
	v_mov_b32_e32 v3, v1
	v_mov_b32_e32 v2, v0
	s_or_b32 s13, vcc_lo, s13
	s_andn2_b32 exec_lo, exec_lo, s13
	s_cbranch_execnz .LBB1_98
.LBB1_99:                               ;   in Loop: Header=BB1_31 Depth=1
	s_or_b32 exec_lo, exec_lo, s12
	global_load_dwordx2 v[0:1], v9, s[6:7] offset:16
	s_mov_b32 s13, exec_lo
	s_mov_b32 s12, exec_lo
	v_mbcnt_lo_u32_b32 v2, s13, 0
	v_cmpx_eq_u32_e32 0, v2
	s_cbranch_execz .LBB1_101
; %bb.100:                              ;   in Loop: Header=BB1_31 Depth=1
	s_bcnt1_i32_b32 s13, s13
	v_mov_b32_e32 v8, s13
	s_waitcnt vmcnt(0)
	global_atomic_add_x2 v[0:1], v[8:9], off offset:8
.LBB1_101:                              ;   in Loop: Header=BB1_31 Depth=1
	s_or_b32 exec_lo, exec_lo, s12
	s_waitcnt vmcnt(0)
	global_load_dwordx2 v[2:3], v[0:1], off offset:16
	s_waitcnt vmcnt(0)
	v_cmp_eq_u64_e32 vcc_lo, 0, v[2:3]
	s_cbranch_vccnz .LBB1_103
; %bb.102:                              ;   in Loop: Header=BB1_31 Depth=1
	global_load_dword v8, v[0:1], off offset:24
	s_waitcnt vmcnt(0)
	v_readfirstlane_b32 s12, v8
	s_waitcnt_vscnt null, 0x0
	global_store_dwordx2 v[2:3], v[8:9], off
	s_and_b32 m0, s12, 0x7fffff
	s_sendmsg sendmsg(MSG_INTERRUPT)
.LBB1_103:                              ;   in Loop: Header=BB1_31 Depth=1
	s_or_b32 exec_lo, exec_lo, s5
	v_add_co_u32 v0, vcc_lo, v37, v33
	v_add_co_ci_u32_e64 v1, null, 0, v27, vcc_lo
	s_branch .LBB1_107
	.p2align	6
.LBB1_104:                              ;   in Loop: Header=BB1_107 Depth=2
	s_or_b32 exec_lo, exec_lo, s5
	v_readfirstlane_b32 s5, v2
	s_cmp_eq_u32 s5, 0
	s_cbranch_scc1 .LBB1_106
; %bb.105:                              ;   in Loop: Header=BB1_107 Depth=2
	s_sleep 1
	s_cbranch_execnz .LBB1_107
	s_branch .LBB1_109
	.p2align	6
.LBB1_106:                              ;   in Loop: Header=BB1_31 Depth=1
	s_branch .LBB1_109
.LBB1_107:                              ;   Parent Loop BB1_31 Depth=1
                                        ; =>  This Inner Loop Header: Depth=2
	v_mov_b32_e32 v2, 1
	s_and_saveexec_b32 s5, s4
	s_cbranch_execz .LBB1_104
; %bb.108:                              ;   in Loop: Header=BB1_107 Depth=2
	global_load_dword v2, v[30:31], off offset:20 glc dlc
	s_waitcnt vmcnt(0)
	buffer_gl1_inv
	buffer_gl0_inv
	v_and_b32_e32 v2, 1, v2
	s_branch .LBB1_104
.LBB1_109:                              ;   in Loop: Header=BB1_31 Depth=1
	global_load_dwordx2 v[0:1], v[0:1], off
	s_and_saveexec_b32 s12, s4
	s_cbranch_execz .LBB1_30
; %bb.110:                              ;   in Loop: Header=BB1_31 Depth=1
	s_clause 0x2
	global_load_dwordx2 v[2:3], v9, s[6:7] offset:40
	global_load_dwordx2 v[16:17], v9, s[6:7] offset:24 glc dlc
	global_load_dwordx2 v[12:13], v9, s[6:7]
	s_waitcnt vmcnt(2)
	v_readfirstlane_b32 s16, v2
	v_readfirstlane_b32 s17, v3
	s_add_u32 s13, s16, 1
	s_addc_u32 s18, s17, 0
	s_add_u32 s4, s13, s10
	s_addc_u32 s5, s18, s11
	s_cmp_eq_u64 s[4:5], 0
	s_cselect_b32 s5, s18, s5
	s_cselect_b32 s4, s13, s4
	v_mov_b32_e32 v15, s5
	s_and_b64 s[10:11], s[4:5], s[16:17]
	v_mov_b32_e32 v14, s4
	s_mul_i32 s11, s11, 24
	s_mul_hi_u32 s13, s10, 24
	s_mul_i32 s10, s10, 24
	s_add_i32 s13, s13, s11
	s_waitcnt vmcnt(0)
	v_add_co_u32 v2, vcc_lo, v12, s10
	v_add_co_ci_u32_e64 v3, null, s13, v13, vcc_lo
	global_store_dwordx2 v[2:3], v[16:17], off
	s_waitcnt_vscnt null, 0x0
	global_atomic_cmpswap_x2 v[14:15], v9, v[14:17], s[6:7] offset:24 glc
	s_waitcnt vmcnt(0)
	v_cmp_ne_u64_e32 vcc_lo, v[14:15], v[16:17]
	s_and_b32 exec_lo, exec_lo, vcc_lo
	s_cbranch_execz .LBB1_30
; %bb.111:                              ;   in Loop: Header=BB1_31 Depth=1
	s_mov_b32 s10, 0
.LBB1_112:                              ;   Parent Loop BB1_31 Depth=1
                                        ; =>  This Inner Loop Header: Depth=2
	v_mov_b32_e32 v12, s4
	v_mov_b32_e32 v13, s5
	s_sleep 1
	global_store_dwordx2 v[2:3], v[14:15], off
	s_waitcnt_vscnt null, 0x0
	global_atomic_cmpswap_x2 v[12:13], v9, v[12:15], s[6:7] offset:24 glc
	s_waitcnt vmcnt(0)
	v_cmp_eq_u64_e32 vcc_lo, v[12:13], v[14:15]
	v_mov_b32_e32 v15, v13
	v_mov_b32_e32 v14, v12
	s_or_b32 s10, vcc_lo, s10
	s_andn2_b32 exec_lo, exec_lo, s10
	s_cbranch_execnz .LBB1_112
	s_branch .LBB1_30
.LBB1_113:
                                        ; implicit-def: $vgpr0_vgpr1
	s_cbranch_execnz .LBB1_115
	s_branch .LBB1_142
.LBB1_114:
	s_or_b32 exec_lo, exec_lo, s14
	s_branch .LBB1_142
.LBB1_115:
	v_readfirstlane_b32 s4, v32
	v_mov_b32_e32 v9, 0
	v_mov_b32_e32 v10, 0
	v_cmp_eq_u32_e64 s4, s4, v32
	s_and_saveexec_b32 s5, s4
	s_cbranch_execz .LBB1_121
; %bb.116:
	s_waitcnt vmcnt(0)
	v_mov_b32_e32 v0, 0
	s_mov_b32 s10, exec_lo
	global_load_dwordx2 v[11:12], v0, s[6:7] offset:24 glc dlc
	s_waitcnt vmcnt(0)
	buffer_gl1_inv
	buffer_gl0_inv
	s_clause 0x1
	global_load_dwordx2 v[1:2], v0, s[6:7] offset:40
	global_load_dwordx2 v[8:9], v0, s[6:7]
	s_waitcnt vmcnt(1)
	v_and_b32_e32 v2, v2, v12
	v_and_b32_e32 v1, v1, v11
	v_mul_lo_u32 v2, v2, 24
	v_mul_hi_u32 v3, v1, 24
	v_mul_lo_u32 v1, v1, 24
	v_add_nc_u32_e32 v2, v3, v2
	s_waitcnt vmcnt(0)
	v_add_co_u32 v1, vcc_lo, v8, v1
	v_add_co_ci_u32_e64 v2, null, v9, v2, vcc_lo
	global_load_dwordx2 v[9:10], v[1:2], off glc dlc
	s_waitcnt vmcnt(0)
	global_atomic_cmpswap_x2 v[9:10], v0, v[9:12], s[6:7] offset:24 glc
	s_waitcnt vmcnt(0)
	buffer_gl1_inv
	buffer_gl0_inv
	v_cmpx_ne_u64_e64 v[9:10], v[11:12]
	s_cbranch_execz .LBB1_120
; %bb.117:
	s_mov_b32 s11, 0
	.p2align	6
.LBB1_118:                              ; =>This Inner Loop Header: Depth=1
	s_sleep 1
	s_clause 0x1
	global_load_dwordx2 v[1:2], v0, s[6:7] offset:40
	global_load_dwordx2 v[13:14], v0, s[6:7]
	v_mov_b32_e32 v12, v10
	v_mov_b32_e32 v11, v9
	s_waitcnt vmcnt(1)
	v_and_b32_e32 v1, v1, v11
	v_and_b32_e32 v2, v2, v12
	s_waitcnt vmcnt(0)
	v_mad_u64_u32 v[8:9], null, v1, 24, v[13:14]
	v_mov_b32_e32 v1, v9
	v_mad_u64_u32 v[1:2], null, v2, 24, v[1:2]
	v_mov_b32_e32 v9, v1
	global_load_dwordx2 v[9:10], v[8:9], off glc dlc
	s_waitcnt vmcnt(0)
	global_atomic_cmpswap_x2 v[9:10], v0, v[9:12], s[6:7] offset:24 glc
	s_waitcnt vmcnt(0)
	buffer_gl1_inv
	buffer_gl0_inv
	v_cmp_eq_u64_e32 vcc_lo, v[9:10], v[11:12]
	s_or_b32 s11, vcc_lo, s11
	s_andn2_b32 exec_lo, exec_lo, s11
	s_cbranch_execnz .LBB1_118
; %bb.119:
	s_or_b32 exec_lo, exec_lo, s11
.LBB1_120:
	s_or_b32 exec_lo, exec_lo, s10
.LBB1_121:
	s_or_b32 exec_lo, exec_lo, s5
	v_mov_b32_e32 v8, 0
	v_readfirstlane_b32 s11, v10
	v_readfirstlane_b32 s10, v9
	s_mov_b32 s5, exec_lo
	s_clause 0x1
	global_load_dwordx2 v[11:12], v8, s[6:7] offset:40
	global_load_dwordx4 v[0:3], v8, s[6:7]
	s_waitcnt vmcnt(1)
	v_readfirstlane_b32 s12, v11
	v_readfirstlane_b32 s13, v12
	s_and_b64 s[12:13], s[12:13], s[10:11]
	s_mul_i32 s14, s13, 24
	s_mul_hi_u32 s15, s12, 24
	s_mul_i32 s16, s12, 24
	s_add_i32 s15, s15, s14
	s_waitcnt vmcnt(0)
	v_add_co_u32 v10, vcc_lo, v0, s16
	v_add_co_ci_u32_e64 v11, null, s15, v1, vcc_lo
	s_and_saveexec_b32 s14, s4
	s_cbranch_execz .LBB1_123
; %bb.122:
	v_mov_b32_e32 v12, s5
	v_mov_b32_e32 v13, v8
	;; [unrolled: 1-line block ×4, first 2 shown]
	global_store_dwordx4 v[10:11], v[12:15], off offset:8
.LBB1_123:
	s_or_b32 exec_lo, exec_lo, s14
	s_lshl_b64 s[12:13], s[12:13], 12
	v_and_or_b32 v6, 0xffffff1f, v6, 32
	v_add_co_u32 v2, vcc_lo, v2, s12
	v_add_co_ci_u32_e64 v3, null, s13, v3, vcc_lo
	s_mov_b32 s12, 0
	v_add_co_u32 v12, vcc_lo, v2, v33
	s_mov_b32 s15, s12
	s_mov_b32 s13, s12
	;; [unrolled: 1-line block ×3, first 2 shown]
	v_mov_b32_e32 v9, v8
	v_readfirstlane_b32 s16, v2
	v_readfirstlane_b32 s17, v3
	v_mov_b32_e32 v17, s15
	v_add_co_ci_u32_e64 v13, null, 0, v3, vcc_lo
	v_mov_b32_e32 v16, s14
	v_mov_b32_e32 v15, s13
	;; [unrolled: 1-line block ×3, first 2 shown]
	global_store_dwordx4 v33, v[6:9], s[16:17]
	global_store_dwordx4 v33, v[14:17], s[16:17] offset:16
	global_store_dwordx4 v33, v[14:17], s[16:17] offset:32
	;; [unrolled: 1-line block ×3, first 2 shown]
	s_and_saveexec_b32 s5, s4
	s_cbranch_execz .LBB1_131
; %bb.124:
	v_mov_b32_e32 v8, 0
	v_mov_b32_e32 v14, s10
	;; [unrolled: 1-line block ×3, first 2 shown]
	s_clause 0x1
	global_load_dwordx2 v[16:17], v8, s[6:7] offset:32 glc dlc
	global_load_dwordx2 v[2:3], v8, s[6:7] offset:40
	s_waitcnt vmcnt(0)
	v_readfirstlane_b32 s12, v2
	v_readfirstlane_b32 s13, v3
	s_and_b64 s[12:13], s[12:13], s[10:11]
	s_mul_i32 s13, s13, 24
	s_mul_hi_u32 s14, s12, 24
	s_mul_i32 s12, s12, 24
	s_add_i32 s14, s14, s13
	v_add_co_u32 v6, vcc_lo, v0, s12
	v_add_co_ci_u32_e64 v7, null, s14, v1, vcc_lo
	s_mov_b32 s12, exec_lo
	global_store_dwordx2 v[6:7], v[16:17], off
	s_waitcnt_vscnt null, 0x0
	global_atomic_cmpswap_x2 v[2:3], v8, v[14:17], s[6:7] offset:32 glc
	s_waitcnt vmcnt(0)
	v_cmpx_ne_u64_e64 v[2:3], v[16:17]
	s_cbranch_execz .LBB1_127
; %bb.125:
	s_mov_b32 s13, 0
.LBB1_126:                              ; =>This Inner Loop Header: Depth=1
	v_mov_b32_e32 v0, s10
	v_mov_b32_e32 v1, s11
	s_sleep 1
	global_store_dwordx2 v[6:7], v[2:3], off
	s_waitcnt_vscnt null, 0x0
	global_atomic_cmpswap_x2 v[0:1], v8, v[0:3], s[6:7] offset:32 glc
	s_waitcnt vmcnt(0)
	v_cmp_eq_u64_e32 vcc_lo, v[0:1], v[2:3]
	v_mov_b32_e32 v3, v1
	v_mov_b32_e32 v2, v0
	s_or_b32 s13, vcc_lo, s13
	s_andn2_b32 exec_lo, exec_lo, s13
	s_cbranch_execnz .LBB1_126
.LBB1_127:
	s_or_b32 exec_lo, exec_lo, s12
	v_mov_b32_e32 v3, 0
	s_mov_b32 s13, exec_lo
	s_mov_b32 s12, exec_lo
	v_mbcnt_lo_u32_b32 v2, s13, 0
	global_load_dwordx2 v[0:1], v3, s[6:7] offset:16
	v_cmpx_eq_u32_e32 0, v2
	s_cbranch_execz .LBB1_129
; %bb.128:
	s_bcnt1_i32_b32 s13, s13
	v_mov_b32_e32 v2, s13
	s_waitcnt vmcnt(0)
	global_atomic_add_x2 v[0:1], v[2:3], off offset:8
.LBB1_129:
	s_or_b32 exec_lo, exec_lo, s12
	s_waitcnt vmcnt(0)
	global_load_dwordx2 v[2:3], v[0:1], off offset:16
	s_waitcnt vmcnt(0)
	v_cmp_eq_u64_e32 vcc_lo, 0, v[2:3]
	s_cbranch_vccnz .LBB1_131
; %bb.130:
	global_load_dword v0, v[0:1], off offset:24
	v_mov_b32_e32 v1, 0
	s_waitcnt vmcnt(0)
	v_readfirstlane_b32 s12, v0
	s_waitcnt_vscnt null, 0x0
	global_store_dwordx2 v[2:3], v[0:1], off
	s_and_b32 m0, s12, 0x7fffff
	s_sendmsg sendmsg(MSG_INTERRUPT)
.LBB1_131:
	s_or_b32 exec_lo, exec_lo, s5
	s_branch .LBB1_135
	.p2align	6
.LBB1_132:                              ;   in Loop: Header=BB1_135 Depth=1
	s_or_b32 exec_lo, exec_lo, s5
	v_readfirstlane_b32 s5, v0
	s_cmp_eq_u32 s5, 0
	s_cbranch_scc1 .LBB1_134
; %bb.133:                              ;   in Loop: Header=BB1_135 Depth=1
	s_sleep 1
	s_cbranch_execnz .LBB1_135
	s_branch .LBB1_137
	.p2align	6
.LBB1_134:
	s_branch .LBB1_137
.LBB1_135:                              ; =>This Inner Loop Header: Depth=1
	v_mov_b32_e32 v0, 1
	s_and_saveexec_b32 s5, s4
	s_cbranch_execz .LBB1_132
; %bb.136:                              ;   in Loop: Header=BB1_135 Depth=1
	global_load_dword v0, v[10:11], off offset:20 glc dlc
	s_waitcnt vmcnt(0)
	buffer_gl1_inv
	buffer_gl0_inv
	v_and_b32_e32 v0, 1, v0
	s_branch .LBB1_132
.LBB1_137:
	global_load_dwordx2 v[0:1], v[12:13], off
	s_and_saveexec_b32 s12, s4
	s_cbranch_execz .LBB1_141
; %bb.138:
	v_mov_b32_e32 v10, 0
	s_clause 0x2
	global_load_dwordx2 v[2:3], v10, s[6:7] offset:40
	global_load_dwordx2 v[13:14], v10, s[6:7] offset:24 glc dlc
	global_load_dwordx2 v[6:7], v10, s[6:7]
	s_waitcnt vmcnt(2)
	v_readfirstlane_b32 s14, v2
	v_readfirstlane_b32 s15, v3
	s_add_u32 s13, s14, 1
	s_addc_u32 s16, s15, 0
	s_add_u32 s4, s13, s10
	s_addc_u32 s5, s16, s11
	s_cmp_eq_u64 s[4:5], 0
	s_cselect_b32 s5, s16, s5
	s_cselect_b32 s4, s13, s4
	v_mov_b32_e32 v12, s5
	s_and_b64 s[10:11], s[4:5], s[14:15]
	v_mov_b32_e32 v11, s4
	s_mul_i32 s11, s11, 24
	s_mul_hi_u32 s13, s10, 24
	s_mul_i32 s10, s10, 24
	s_add_i32 s13, s13, s11
	s_waitcnt vmcnt(0)
	v_add_co_u32 v2, vcc_lo, v6, s10
	v_add_co_ci_u32_e64 v3, null, s13, v7, vcc_lo
	global_store_dwordx2 v[2:3], v[13:14], off
	s_waitcnt_vscnt null, 0x0
	global_atomic_cmpswap_x2 v[8:9], v10, v[11:14], s[6:7] offset:24 glc
	s_waitcnt vmcnt(0)
	v_cmp_ne_u64_e32 vcc_lo, v[8:9], v[13:14]
	s_and_b32 exec_lo, exec_lo, vcc_lo
	s_cbranch_execz .LBB1_141
; %bb.139:
	s_mov_b32 s10, 0
.LBB1_140:                              ; =>This Inner Loop Header: Depth=1
	v_mov_b32_e32 v6, s4
	v_mov_b32_e32 v7, s5
	s_sleep 1
	global_store_dwordx2 v[2:3], v[8:9], off
	s_waitcnt_vscnt null, 0x0
	global_atomic_cmpswap_x2 v[6:7], v10, v[6:9], s[6:7] offset:24 glc
	s_waitcnt vmcnt(0)
	v_cmp_eq_u64_e32 vcc_lo, v[6:7], v[8:9]
	v_mov_b32_e32 v9, v7
	v_mov_b32_e32 v8, v6
	s_or_b32 s10, vcc_lo, s10
	s_andn2_b32 exec_lo, exec_lo, s10
	s_cbranch_execnz .LBB1_140
.LBB1_141:
	s_or_b32 exec_lo, exec_lo, s12
.LBB1_142:
	s_getpc_b64 s[10:11]
	s_add_u32 s10, s10, .str.4@rel32@lo+4
	s_addc_u32 s11, s11, .str.4@rel32@hi+12
	s_cmp_lg_u64 s[10:11], 0
	s_cbranch_scc0 .LBB1_220
; %bb.143:
	s_getpc_b64 s[4:5]
	s_add_u32 s4, s4, .str.4@rel32@lo+80
	s_addc_u32 s5, s5, .str.4@rel32@hi+88
	s_waitcnt vmcnt(0)
	v_and_b32_e32 v30, 2, v0
	v_mov_b32_e32 v11, 0
	v_and_b32_e32 v6, -3, v0
	v_mov_b32_e32 v7, v1
	v_mov_b32_e32 v12, 2
	;; [unrolled: 1-line block ×3, first 2 shown]
	s_sub_i32 s12, s4, s10
	s_ashr_i32 s13, s12, 31
	s_branch .LBB1_145
.LBB1_144:                              ;   in Loop: Header=BB1_145 Depth=1
	s_or_b32 exec_lo, exec_lo, s18
	s_sub_u32 s12, s12, s14
	s_subb_u32 s13, s13, s15
	s_add_u32 s10, s10, s14
	s_addc_u32 s11, s11, s15
	s_cmp_lg_u64 s[12:13], 0
	s_cbranch_scc0 .LBB1_221
.LBB1_145:                              ; =>This Loop Header: Depth=1
                                        ;     Child Loop BB1_148 Depth 2
                                        ;     Child Loop BB1_155 Depth 2
                                        ;     Child Loop BB1_162 Depth 2
                                        ;     Child Loop BB1_169 Depth 2
                                        ;     Child Loop BB1_176 Depth 2
                                        ;     Child Loop BB1_183 Depth 2
                                        ;     Child Loop BB1_190 Depth 2
                                        ;     Child Loop BB1_197 Depth 2
                                        ;     Child Loop BB1_205 Depth 2
                                        ;     Child Loop BB1_214 Depth 2
                                        ;     Child Loop BB1_219 Depth 2
	v_cmp_lt_u64_e64 s4, s[12:13], 56
	v_cmp_gt_u64_e64 s16, s[12:13], 7
	s_and_b32 s4, s4, exec_lo
	s_cselect_b32 s15, s13, 0
	s_cselect_b32 s14, s12, 56
	s_add_u32 s4, s10, 8
	s_addc_u32 s5, s11, 0
	s_and_b32 vcc_lo, exec_lo, s16
	s_cbranch_vccnz .LBB1_150
; %bb.146:                              ;   in Loop: Header=BB1_145 Depth=1
	v_mov_b32_e32 v8, 0
	v_mov_b32_e32 v9, 0
	s_cmp_eq_u64 s[12:13], 0
	s_cbranch_scc1 .LBB1_149
; %bb.147:                              ;   in Loop: Header=BB1_145 Depth=1
	s_lshl_b64 s[4:5], s[14:15], 3
	s_mov_b64 s[16:17], 0
	s_mov_b64 s[18:19], s[10:11]
.LBB1_148:                              ;   Parent Loop BB1_145 Depth=1
                                        ; =>  This Inner Loop Header: Depth=2
	global_load_ubyte v2, v11, s[18:19]
	s_waitcnt vmcnt(0)
	v_and_b32_e32 v10, 0xffff, v2
	v_lshlrev_b64 v[2:3], s16, v[10:11]
	s_add_u32 s16, s16, 8
	s_addc_u32 s17, s17, 0
	s_add_u32 s18, s18, 1
	s_addc_u32 s19, s19, 0
	s_cmp_lg_u32 s4, s16
	v_or_b32_e32 v8, v2, v8
	v_or_b32_e32 v9, v3, v9
	s_cbranch_scc1 .LBB1_148
.LBB1_149:                              ;   in Loop: Header=BB1_145 Depth=1
	s_mov_b64 s[4:5], s[10:11]
	s_mov_b32 s20, 0
	s_cbranch_execz .LBB1_151
	s_branch .LBB1_152
.LBB1_150:                              ;   in Loop: Header=BB1_145 Depth=1
	s_mov_b32 s20, 0
.LBB1_151:                              ;   in Loop: Header=BB1_145 Depth=1
	global_load_dwordx2 v[8:9], v11, s[10:11]
	s_add_i32 s20, s14, -8
.LBB1_152:                              ;   in Loop: Header=BB1_145 Depth=1
	s_add_u32 s16, s4, 8
	s_addc_u32 s17, s5, 0
	s_cmp_gt_u32 s20, 7
	s_cbranch_scc1 .LBB1_157
; %bb.153:                              ;   in Loop: Header=BB1_145 Depth=1
	v_mov_b32_e32 v14, 0
	v_mov_b32_e32 v15, 0
	s_cmp_eq_u32 s20, 0
	s_cbranch_scc1 .LBB1_156
; %bb.154:                              ;   in Loop: Header=BB1_145 Depth=1
	s_mov_b64 s[16:17], 0
	s_mov_b64 s[18:19], 0
.LBB1_155:                              ;   Parent Loop BB1_145 Depth=1
                                        ; =>  This Inner Loop Header: Depth=2
	s_add_u32 s22, s4, s18
	s_addc_u32 s23, s5, s19
	s_add_u32 s18, s18, 1
	global_load_ubyte v2, v11, s[22:23]
	s_addc_u32 s19, s19, 0
	s_waitcnt vmcnt(0)
	v_and_b32_e32 v10, 0xffff, v2
	v_lshlrev_b64 v[2:3], s16, v[10:11]
	s_add_u32 s16, s16, 8
	s_addc_u32 s17, s17, 0
	s_cmp_lg_u32 s20, s18
	v_or_b32_e32 v14, v2, v14
	v_or_b32_e32 v15, v3, v15
	s_cbranch_scc1 .LBB1_155
.LBB1_156:                              ;   in Loop: Header=BB1_145 Depth=1
	s_mov_b64 s[16:17], s[4:5]
	s_mov_b32 s21, 0
	s_cbranch_execz .LBB1_158
	s_branch .LBB1_159
.LBB1_157:                              ;   in Loop: Header=BB1_145 Depth=1
                                        ; implicit-def: $vgpr14_vgpr15
	s_mov_b32 s21, 0
.LBB1_158:                              ;   in Loop: Header=BB1_145 Depth=1
	global_load_dwordx2 v[14:15], v11, s[4:5]
	s_add_i32 s21, s20, -8
.LBB1_159:                              ;   in Loop: Header=BB1_145 Depth=1
	s_add_u32 s4, s16, 8
	s_addc_u32 s5, s17, 0
	s_cmp_gt_u32 s21, 7
	s_cbranch_scc1 .LBB1_164
; %bb.160:                              ;   in Loop: Header=BB1_145 Depth=1
	v_mov_b32_e32 v16, 0
	v_mov_b32_e32 v17, 0
	s_cmp_eq_u32 s21, 0
	s_cbranch_scc1 .LBB1_163
; %bb.161:                              ;   in Loop: Header=BB1_145 Depth=1
	s_mov_b64 s[4:5], 0
	s_mov_b64 s[18:19], 0
.LBB1_162:                              ;   Parent Loop BB1_145 Depth=1
                                        ; =>  This Inner Loop Header: Depth=2
	s_add_u32 s22, s16, s18
	s_addc_u32 s23, s17, s19
	s_add_u32 s18, s18, 1
	global_load_ubyte v2, v11, s[22:23]
	s_addc_u32 s19, s19, 0
	s_waitcnt vmcnt(0)
	v_and_b32_e32 v10, 0xffff, v2
	v_lshlrev_b64 v[2:3], s4, v[10:11]
	s_add_u32 s4, s4, 8
	s_addc_u32 s5, s5, 0
	s_cmp_lg_u32 s21, s18
	v_or_b32_e32 v16, v2, v16
	v_or_b32_e32 v17, v3, v17
	s_cbranch_scc1 .LBB1_162
.LBB1_163:                              ;   in Loop: Header=BB1_145 Depth=1
	s_mov_b64 s[4:5], s[16:17]
	s_mov_b32 s20, 0
	s_cbranch_execz .LBB1_165
	s_branch .LBB1_166
.LBB1_164:                              ;   in Loop: Header=BB1_145 Depth=1
	s_mov_b32 s20, 0
.LBB1_165:                              ;   in Loop: Header=BB1_145 Depth=1
	global_load_dwordx2 v[16:17], v11, s[16:17]
	s_add_i32 s20, s21, -8
.LBB1_166:                              ;   in Loop: Header=BB1_145 Depth=1
	s_add_u32 s16, s4, 8
	s_addc_u32 s17, s5, 0
	s_cmp_gt_u32 s20, 7
	s_cbranch_scc1 .LBB1_171
; %bb.167:                              ;   in Loop: Header=BB1_145 Depth=1
	v_mov_b32_e32 v18, 0
	v_mov_b32_e32 v19, 0
	s_cmp_eq_u32 s20, 0
	s_cbranch_scc1 .LBB1_170
; %bb.168:                              ;   in Loop: Header=BB1_145 Depth=1
	s_mov_b64 s[16:17], 0
	s_mov_b64 s[18:19], 0
.LBB1_169:                              ;   Parent Loop BB1_145 Depth=1
                                        ; =>  This Inner Loop Header: Depth=2
	s_add_u32 s22, s4, s18
	s_addc_u32 s23, s5, s19
	s_add_u32 s18, s18, 1
	global_load_ubyte v2, v11, s[22:23]
	s_addc_u32 s19, s19, 0
	s_waitcnt vmcnt(0)
	v_and_b32_e32 v10, 0xffff, v2
	v_lshlrev_b64 v[2:3], s16, v[10:11]
	s_add_u32 s16, s16, 8
	s_addc_u32 s17, s17, 0
	s_cmp_lg_u32 s20, s18
	v_or_b32_e32 v18, v2, v18
	v_or_b32_e32 v19, v3, v19
	s_cbranch_scc1 .LBB1_169
.LBB1_170:                              ;   in Loop: Header=BB1_145 Depth=1
	s_mov_b64 s[16:17], s[4:5]
	s_mov_b32 s21, 0
	s_cbranch_execz .LBB1_172
	s_branch .LBB1_173
.LBB1_171:                              ;   in Loop: Header=BB1_145 Depth=1
                                        ; implicit-def: $vgpr18_vgpr19
	s_mov_b32 s21, 0
.LBB1_172:                              ;   in Loop: Header=BB1_145 Depth=1
	global_load_dwordx2 v[18:19], v11, s[4:5]
	s_add_i32 s21, s20, -8
.LBB1_173:                              ;   in Loop: Header=BB1_145 Depth=1
	s_add_u32 s4, s16, 8
	s_addc_u32 s5, s17, 0
	s_cmp_gt_u32 s21, 7
	s_cbranch_scc1 .LBB1_178
; %bb.174:                              ;   in Loop: Header=BB1_145 Depth=1
	v_mov_b32_e32 v20, 0
	v_mov_b32_e32 v21, 0
	s_cmp_eq_u32 s21, 0
	s_cbranch_scc1 .LBB1_177
; %bb.175:                              ;   in Loop: Header=BB1_145 Depth=1
	s_mov_b64 s[4:5], 0
	s_mov_b64 s[18:19], 0
.LBB1_176:                              ;   Parent Loop BB1_145 Depth=1
                                        ; =>  This Inner Loop Header: Depth=2
	s_add_u32 s22, s16, s18
	s_addc_u32 s23, s17, s19
	s_add_u32 s18, s18, 1
	global_load_ubyte v2, v11, s[22:23]
	s_addc_u32 s19, s19, 0
	s_waitcnt vmcnt(0)
	v_and_b32_e32 v10, 0xffff, v2
	v_lshlrev_b64 v[2:3], s4, v[10:11]
	s_add_u32 s4, s4, 8
	s_addc_u32 s5, s5, 0
	s_cmp_lg_u32 s21, s18
	v_or_b32_e32 v20, v2, v20
	v_or_b32_e32 v21, v3, v21
	s_cbranch_scc1 .LBB1_176
.LBB1_177:                              ;   in Loop: Header=BB1_145 Depth=1
	s_mov_b64 s[4:5], s[16:17]
	s_mov_b32 s20, 0
	s_cbranch_execz .LBB1_179
	s_branch .LBB1_180
.LBB1_178:                              ;   in Loop: Header=BB1_145 Depth=1
	s_mov_b32 s20, 0
.LBB1_179:                              ;   in Loop: Header=BB1_145 Depth=1
	global_load_dwordx2 v[20:21], v11, s[16:17]
	s_add_i32 s20, s21, -8
.LBB1_180:                              ;   in Loop: Header=BB1_145 Depth=1
	s_add_u32 s16, s4, 8
	s_addc_u32 s17, s5, 0
	s_cmp_gt_u32 s20, 7
	s_cbranch_scc1 .LBB1_185
; %bb.181:                              ;   in Loop: Header=BB1_145 Depth=1
	v_mov_b32_e32 v22, 0
	v_mov_b32_e32 v23, 0
	s_cmp_eq_u32 s20, 0
	s_cbranch_scc1 .LBB1_184
; %bb.182:                              ;   in Loop: Header=BB1_145 Depth=1
	s_mov_b64 s[16:17], 0
	s_mov_b64 s[18:19], 0
.LBB1_183:                              ;   Parent Loop BB1_145 Depth=1
                                        ; =>  This Inner Loop Header: Depth=2
	s_add_u32 s22, s4, s18
	s_addc_u32 s23, s5, s19
	s_add_u32 s18, s18, 1
	global_load_ubyte v2, v11, s[22:23]
	s_addc_u32 s19, s19, 0
	s_waitcnt vmcnt(0)
	v_and_b32_e32 v10, 0xffff, v2
	v_lshlrev_b64 v[2:3], s16, v[10:11]
	s_add_u32 s16, s16, 8
	s_addc_u32 s17, s17, 0
	s_cmp_lg_u32 s20, s18
	v_or_b32_e32 v22, v2, v22
	v_or_b32_e32 v23, v3, v23
	s_cbranch_scc1 .LBB1_183
.LBB1_184:                              ;   in Loop: Header=BB1_145 Depth=1
	s_mov_b64 s[16:17], s[4:5]
	s_mov_b32 s21, 0
	s_cbranch_execz .LBB1_186
	s_branch .LBB1_187
.LBB1_185:                              ;   in Loop: Header=BB1_145 Depth=1
                                        ; implicit-def: $vgpr22_vgpr23
	s_mov_b32 s21, 0
.LBB1_186:                              ;   in Loop: Header=BB1_145 Depth=1
	global_load_dwordx2 v[22:23], v11, s[4:5]
	s_add_i32 s21, s20, -8
.LBB1_187:                              ;   in Loop: Header=BB1_145 Depth=1
	s_cmp_gt_u32 s21, 7
	s_cbranch_scc1 .LBB1_192
; %bb.188:                              ;   in Loop: Header=BB1_145 Depth=1
	v_mov_b32_e32 v24, 0
	v_mov_b32_e32 v25, 0
	s_cmp_eq_u32 s21, 0
	s_cbranch_scc1 .LBB1_191
; %bb.189:                              ;   in Loop: Header=BB1_145 Depth=1
	s_mov_b64 s[4:5], 0
	s_mov_b64 s[18:19], s[16:17]
.LBB1_190:                              ;   Parent Loop BB1_145 Depth=1
                                        ; =>  This Inner Loop Header: Depth=2
	global_load_ubyte v2, v11, s[18:19]
	s_add_i32 s21, s21, -1
	s_waitcnt vmcnt(0)
	v_and_b32_e32 v10, 0xffff, v2
	v_lshlrev_b64 v[2:3], s4, v[10:11]
	s_add_u32 s4, s4, 8
	s_addc_u32 s5, s5, 0
	s_add_u32 s18, s18, 1
	s_addc_u32 s19, s19, 0
	s_cmp_lg_u32 s21, 0
	v_or_b32_e32 v24, v2, v24
	v_or_b32_e32 v25, v3, v25
	s_cbranch_scc1 .LBB1_190
.LBB1_191:                              ;   in Loop: Header=BB1_145 Depth=1
	s_cbranch_execz .LBB1_193
	s_branch .LBB1_194
.LBB1_192:                              ;   in Loop: Header=BB1_145 Depth=1
.LBB1_193:                              ;   in Loop: Header=BB1_145 Depth=1
	global_load_dwordx2 v[24:25], v11, s[16:17]
.LBB1_194:                              ;   in Loop: Header=BB1_145 Depth=1
	v_readfirstlane_b32 s4, v32
	v_mov_b32_e32 v2, 0
	v_mov_b32_e32 v3, 0
	v_cmp_eq_u32_e64 s4, s4, v32
	s_and_saveexec_b32 s5, s4
	s_cbranch_execz .LBB1_200
; %bb.195:                              ;   in Loop: Header=BB1_145 Depth=1
	global_load_dwordx2 v[28:29], v11, s[6:7] offset:24 glc dlc
	s_waitcnt vmcnt(0)
	buffer_gl1_inv
	buffer_gl0_inv
	s_clause 0x1
	global_load_dwordx2 v[2:3], v11, s[6:7] offset:40
	global_load_dwordx2 v[26:27], v11, s[6:7]
	s_mov_b32 s16, exec_lo
	s_waitcnt vmcnt(1)
	v_and_b32_e32 v3, v3, v29
	v_and_b32_e32 v2, v2, v28
	v_mul_lo_u32 v3, v3, 24
	v_mul_hi_u32 v10, v2, 24
	v_mul_lo_u32 v2, v2, 24
	v_add_nc_u32_e32 v3, v10, v3
	s_waitcnt vmcnt(0)
	v_add_co_u32 v2, vcc_lo, v26, v2
	v_add_co_ci_u32_e64 v3, null, v27, v3, vcc_lo
	global_load_dwordx2 v[26:27], v[2:3], off glc dlc
	s_waitcnt vmcnt(0)
	global_atomic_cmpswap_x2 v[2:3], v11, v[26:29], s[6:7] offset:24 glc
	s_waitcnt vmcnt(0)
	buffer_gl1_inv
	buffer_gl0_inv
	v_cmpx_ne_u64_e64 v[2:3], v[28:29]
	s_cbranch_execz .LBB1_199
; %bb.196:                              ;   in Loop: Header=BB1_145 Depth=1
	s_mov_b32 s17, 0
	.p2align	6
.LBB1_197:                              ;   Parent Loop BB1_145 Depth=1
                                        ; =>  This Inner Loop Header: Depth=2
	s_sleep 1
	s_clause 0x1
	global_load_dwordx2 v[26:27], v11, s[6:7] offset:40
	global_load_dwordx2 v[34:35], v11, s[6:7]
	v_mov_b32_e32 v29, v3
	v_mov_b32_e32 v28, v2
	s_waitcnt vmcnt(1)
	v_and_b32_e32 v2, v26, v28
	v_and_b32_e32 v10, v27, v29
	s_waitcnt vmcnt(0)
	v_mad_u64_u32 v[2:3], null, v2, 24, v[34:35]
	v_mad_u64_u32 v[26:27], null, v10, 24, v[3:4]
	v_mov_b32_e32 v3, v26
	global_load_dwordx2 v[26:27], v[2:3], off glc dlc
	s_waitcnt vmcnt(0)
	global_atomic_cmpswap_x2 v[2:3], v11, v[26:29], s[6:7] offset:24 glc
	s_waitcnt vmcnt(0)
	buffer_gl1_inv
	buffer_gl0_inv
	v_cmp_eq_u64_e32 vcc_lo, v[2:3], v[28:29]
	s_or_b32 s17, vcc_lo, s17
	s_andn2_b32 exec_lo, exec_lo, s17
	s_cbranch_execnz .LBB1_197
; %bb.198:                              ;   in Loop: Header=BB1_145 Depth=1
	s_or_b32 exec_lo, exec_lo, s17
.LBB1_199:                              ;   in Loop: Header=BB1_145 Depth=1
	s_or_b32 exec_lo, exec_lo, s16
.LBB1_200:                              ;   in Loop: Header=BB1_145 Depth=1
	s_or_b32 exec_lo, exec_lo, s5
	s_clause 0x1
	global_load_dwordx2 v[34:35], v11, s[6:7] offset:40
	global_load_dwordx4 v[26:29], v11, s[6:7]
	v_readfirstlane_b32 s17, v3
	v_readfirstlane_b32 s16, v2
	s_mov_b32 s5, exec_lo
	s_waitcnt vmcnt(1)
	v_readfirstlane_b32 s18, v34
	v_readfirstlane_b32 s19, v35
	s_and_b64 s[18:19], s[18:19], s[16:17]
	s_mul_i32 s20, s19, 24
	s_mul_hi_u32 s21, s18, 24
	s_mul_i32 s22, s18, 24
	s_add_i32 s21, s21, s20
	s_waitcnt vmcnt(0)
	v_add_co_u32 v2, vcc_lo, v26, s22
	v_add_co_ci_u32_e64 v3, null, s21, v27, vcc_lo
	s_and_saveexec_b32 s20, s4
	s_cbranch_execz .LBB1_202
; %bb.201:                              ;   in Loop: Header=BB1_145 Depth=1
	v_mov_b32_e32 v10, s5
	global_store_dwordx4 v[2:3], v[10:13], off offset:8
.LBB1_202:                              ;   in Loop: Header=BB1_145 Depth=1
	s_or_b32 exec_lo, exec_lo, s20
	v_cmp_lt_u64_e64 vcc_lo, s[12:13], 57
	s_lshl_b64 s[18:19], s[18:19], 12
	v_and_b32_e32 v6, 0xffffff1f, v6
	s_lshl_b32 s5, s14, 2
	s_add_i32 s5, s5, 28
	v_cndmask_b32_e32 v10, 0, v30, vcc_lo
	v_add_co_u32 v28, vcc_lo, v28, s18
	v_add_co_ci_u32_e64 v29, null, s19, v29, vcc_lo
	v_or_b32_e32 v6, v6, v10
	v_readfirstlane_b32 s18, v28
	v_readfirstlane_b32 s19, v29
	v_and_or_b32 v6, 0x1e0, s5, v6
	global_store_dwordx4 v33, v[14:17], s[18:19] offset:16
	global_store_dwordx4 v33, v[6:9], s[18:19]
	global_store_dwordx4 v33, v[18:21], s[18:19] offset:32
	global_store_dwordx4 v33, v[22:25], s[18:19] offset:48
	s_and_saveexec_b32 s5, s4
	s_cbranch_execz .LBB1_210
; %bb.203:                              ;   in Loop: Header=BB1_145 Depth=1
	s_clause 0x1
	global_load_dwordx2 v[18:19], v11, s[6:7] offset:32 glc dlc
	global_load_dwordx2 v[6:7], v11, s[6:7] offset:40
	v_mov_b32_e32 v16, s16
	v_mov_b32_e32 v17, s17
	s_waitcnt vmcnt(0)
	v_readfirstlane_b32 s18, v6
	v_readfirstlane_b32 s19, v7
	s_and_b64 s[18:19], s[18:19], s[16:17]
	s_mul_i32 s19, s19, 24
	s_mul_hi_u32 s20, s18, 24
	s_mul_i32 s18, s18, 24
	s_add_i32 s20, s20, s19
	v_add_co_u32 v14, vcc_lo, v26, s18
	v_add_co_ci_u32_e64 v15, null, s20, v27, vcc_lo
	s_mov_b32 s18, exec_lo
	global_store_dwordx2 v[14:15], v[18:19], off
	s_waitcnt_vscnt null, 0x0
	global_atomic_cmpswap_x2 v[8:9], v11, v[16:19], s[6:7] offset:32 glc
	s_waitcnt vmcnt(0)
	v_cmpx_ne_u64_e64 v[8:9], v[18:19]
	s_cbranch_execz .LBB1_206
; %bb.204:                              ;   in Loop: Header=BB1_145 Depth=1
	s_mov_b32 s19, 0
.LBB1_205:                              ;   Parent Loop BB1_145 Depth=1
                                        ; =>  This Inner Loop Header: Depth=2
	v_mov_b32_e32 v6, s16
	v_mov_b32_e32 v7, s17
	s_sleep 1
	global_store_dwordx2 v[14:15], v[8:9], off
	s_waitcnt_vscnt null, 0x0
	global_atomic_cmpswap_x2 v[6:7], v11, v[6:9], s[6:7] offset:32 glc
	s_waitcnt vmcnt(0)
	v_cmp_eq_u64_e32 vcc_lo, v[6:7], v[8:9]
	v_mov_b32_e32 v9, v7
	v_mov_b32_e32 v8, v6
	s_or_b32 s19, vcc_lo, s19
	s_andn2_b32 exec_lo, exec_lo, s19
	s_cbranch_execnz .LBB1_205
.LBB1_206:                              ;   in Loop: Header=BB1_145 Depth=1
	s_or_b32 exec_lo, exec_lo, s18
	global_load_dwordx2 v[6:7], v11, s[6:7] offset:16
	s_mov_b32 s19, exec_lo
	s_mov_b32 s18, exec_lo
	v_mbcnt_lo_u32_b32 v8, s19, 0
	v_cmpx_eq_u32_e32 0, v8
	s_cbranch_execz .LBB1_208
; %bb.207:                              ;   in Loop: Header=BB1_145 Depth=1
	s_bcnt1_i32_b32 s19, s19
	v_mov_b32_e32 v10, s19
	s_waitcnt vmcnt(0)
	global_atomic_add_x2 v[6:7], v[10:11], off offset:8
.LBB1_208:                              ;   in Loop: Header=BB1_145 Depth=1
	s_or_b32 exec_lo, exec_lo, s18
	s_waitcnt vmcnt(0)
	global_load_dwordx2 v[8:9], v[6:7], off offset:16
	s_waitcnt vmcnt(0)
	v_cmp_eq_u64_e32 vcc_lo, 0, v[8:9]
	s_cbranch_vccnz .LBB1_210
; %bb.209:                              ;   in Loop: Header=BB1_145 Depth=1
	global_load_dword v10, v[6:7], off offset:24
	s_waitcnt vmcnt(0)
	v_readfirstlane_b32 s18, v10
	s_waitcnt_vscnt null, 0x0
	global_store_dwordx2 v[8:9], v[10:11], off
	s_and_b32 m0, s18, 0x7fffff
	s_sendmsg sendmsg(MSG_INTERRUPT)
.LBB1_210:                              ;   in Loop: Header=BB1_145 Depth=1
	s_or_b32 exec_lo, exec_lo, s5
	v_add_co_u32 v6, vcc_lo, v28, v33
	v_add_co_ci_u32_e64 v7, null, 0, v29, vcc_lo
	s_branch .LBB1_214
	.p2align	6
.LBB1_211:                              ;   in Loop: Header=BB1_214 Depth=2
	s_or_b32 exec_lo, exec_lo, s5
	v_readfirstlane_b32 s5, v8
	s_cmp_eq_u32 s5, 0
	s_cbranch_scc1 .LBB1_213
; %bb.212:                              ;   in Loop: Header=BB1_214 Depth=2
	s_sleep 1
	s_cbranch_execnz .LBB1_214
	s_branch .LBB1_216
	.p2align	6
.LBB1_213:                              ;   in Loop: Header=BB1_145 Depth=1
	s_branch .LBB1_216
.LBB1_214:                              ;   Parent Loop BB1_145 Depth=1
                                        ; =>  This Inner Loop Header: Depth=2
	v_mov_b32_e32 v8, 1
	s_and_saveexec_b32 s5, s4
	s_cbranch_execz .LBB1_211
; %bb.215:                              ;   in Loop: Header=BB1_214 Depth=2
	global_load_dword v8, v[2:3], off offset:20 glc dlc
	s_waitcnt vmcnt(0)
	buffer_gl1_inv
	buffer_gl0_inv
	v_and_b32_e32 v8, 1, v8
	s_branch .LBB1_211
.LBB1_216:                              ;   in Loop: Header=BB1_145 Depth=1
	global_load_dwordx2 v[6:7], v[6:7], off
	s_and_saveexec_b32 s18, s4
	s_cbranch_execz .LBB1_144
; %bb.217:                              ;   in Loop: Header=BB1_145 Depth=1
	s_clause 0x2
	global_load_dwordx2 v[2:3], v11, s[6:7] offset:40
	global_load_dwordx2 v[18:19], v11, s[6:7] offset:24 glc dlc
	global_load_dwordx2 v[8:9], v11, s[6:7]
	s_waitcnt vmcnt(2)
	v_readfirstlane_b32 s20, v2
	v_readfirstlane_b32 s21, v3
	s_add_u32 s19, s20, 1
	s_addc_u32 s22, s21, 0
	s_add_u32 s4, s19, s16
	s_addc_u32 s5, s22, s17
	s_cmp_eq_u64 s[4:5], 0
	s_cselect_b32 s5, s22, s5
	s_cselect_b32 s4, s19, s4
	v_mov_b32_e32 v17, s5
	s_and_b64 s[16:17], s[4:5], s[20:21]
	v_mov_b32_e32 v16, s4
	s_mul_i32 s17, s17, 24
	s_mul_hi_u32 s19, s16, 24
	s_mul_i32 s16, s16, 24
	s_add_i32 s19, s19, s17
	s_waitcnt vmcnt(0)
	v_add_co_u32 v2, vcc_lo, v8, s16
	v_add_co_ci_u32_e64 v3, null, s19, v9, vcc_lo
	global_store_dwordx2 v[2:3], v[18:19], off
	s_waitcnt_vscnt null, 0x0
	global_atomic_cmpswap_x2 v[16:17], v11, v[16:19], s[6:7] offset:24 glc
	s_waitcnt vmcnt(0)
	v_cmp_ne_u64_e32 vcc_lo, v[16:17], v[18:19]
	s_and_b32 exec_lo, exec_lo, vcc_lo
	s_cbranch_execz .LBB1_144
; %bb.218:                              ;   in Loop: Header=BB1_145 Depth=1
	s_mov_b32 s16, 0
.LBB1_219:                              ;   Parent Loop BB1_145 Depth=1
                                        ; =>  This Inner Loop Header: Depth=2
	v_mov_b32_e32 v14, s4
	v_mov_b32_e32 v15, s5
	s_sleep 1
	global_store_dwordx2 v[2:3], v[16:17], off
	s_waitcnt_vscnt null, 0x0
	global_atomic_cmpswap_x2 v[8:9], v11, v[14:17], s[6:7] offset:24 glc
	s_waitcnt vmcnt(0)
	v_cmp_eq_u64_e32 vcc_lo, v[8:9], v[16:17]
	v_mov_b32_e32 v17, v9
	v_mov_b32_e32 v16, v8
	s_or_b32 s16, vcc_lo, s16
	s_andn2_b32 exec_lo, exec_lo, s16
	s_cbranch_execnz .LBB1_219
	s_branch .LBB1_144
.LBB1_220:
                                        ; implicit-def: $vgpr6_vgpr7
	s_cbranch_execnz .LBB1_222
	s_branch .LBB1_249
.LBB1_221:
	s_branch .LBB1_249
.LBB1_222:
	v_readfirstlane_b32 s4, v32
	v_mov_b32_e32 v10, 0
	v_mov_b32_e32 v11, 0
	v_cmp_eq_u32_e64 s4, s4, v32
	s_and_saveexec_b32 s5, s4
	s_cbranch_execz .LBB1_228
; %bb.223:
	v_mov_b32_e32 v2, 0
	s_mov_b32 s10, exec_lo
	global_load_dwordx2 v[8:9], v2, s[6:7] offset:24 glc dlc
	s_waitcnt vmcnt(0)
	buffer_gl1_inv
	buffer_gl0_inv
	s_clause 0x1
	global_load_dwordx2 v[6:7], v2, s[6:7] offset:40
	global_load_dwordx2 v[10:11], v2, s[6:7]
	s_waitcnt vmcnt(1)
	v_and_b32_e32 v3, v7, v9
	v_and_b32_e32 v6, v6, v8
	v_mul_lo_u32 v3, v3, 24
	v_mul_hi_u32 v7, v6, 24
	v_mul_lo_u32 v6, v6, 24
	v_add_nc_u32_e32 v3, v7, v3
	s_waitcnt vmcnt(0)
	v_add_co_u32 v6, vcc_lo, v10, v6
	v_add_co_ci_u32_e64 v7, null, v11, v3, vcc_lo
	global_load_dwordx2 v[6:7], v[6:7], off glc dlc
	s_waitcnt vmcnt(0)
	global_atomic_cmpswap_x2 v[10:11], v2, v[6:9], s[6:7] offset:24 glc
	s_waitcnt vmcnt(0)
	buffer_gl1_inv
	buffer_gl0_inv
	v_cmpx_ne_u64_e64 v[10:11], v[8:9]
	s_cbranch_execz .LBB1_227
; %bb.224:
	s_mov_b32 s11, 0
	.p2align	6
.LBB1_225:                              ; =>This Inner Loop Header: Depth=1
	s_sleep 1
	s_clause 0x1
	global_load_dwordx2 v[6:7], v2, s[6:7] offset:40
	global_load_dwordx2 v[12:13], v2, s[6:7]
	v_mov_b32_e32 v8, v10
	v_mov_b32_e32 v9, v11
	s_waitcnt vmcnt(1)
	v_and_b32_e32 v3, v6, v8
	v_and_b32_e32 v6, v7, v9
	s_waitcnt vmcnt(0)
	v_mad_u64_u32 v[10:11], null, v3, 24, v[12:13]
	v_mov_b32_e32 v3, v11
	v_mad_u64_u32 v[6:7], null, v6, 24, v[3:4]
	v_mov_b32_e32 v11, v6
	global_load_dwordx2 v[6:7], v[10:11], off glc dlc
	s_waitcnt vmcnt(0)
	global_atomic_cmpswap_x2 v[10:11], v2, v[6:9], s[6:7] offset:24 glc
	s_waitcnt vmcnt(0)
	buffer_gl1_inv
	buffer_gl0_inv
	v_cmp_eq_u64_e32 vcc_lo, v[10:11], v[8:9]
	s_or_b32 s11, vcc_lo, s11
	s_andn2_b32 exec_lo, exec_lo, s11
	s_cbranch_execnz .LBB1_225
; %bb.226:
	s_or_b32 exec_lo, exec_lo, s11
.LBB1_227:
	s_or_b32 exec_lo, exec_lo, s10
.LBB1_228:
	s_or_b32 exec_lo, exec_lo, s5
	v_mov_b32_e32 v2, 0
	v_readfirstlane_b32 s11, v11
	v_readfirstlane_b32 s10, v10
	s_mov_b32 s5, exec_lo
	s_clause 0x1
	global_load_dwordx2 v[12:13], v2, s[6:7] offset:40
	global_load_dwordx4 v[6:9], v2, s[6:7]
	s_waitcnt vmcnt(1)
	v_readfirstlane_b32 s12, v12
	v_readfirstlane_b32 s13, v13
	s_and_b64 s[12:13], s[12:13], s[10:11]
	s_mul_i32 s14, s13, 24
	s_mul_hi_u32 s15, s12, 24
	s_mul_i32 s16, s12, 24
	s_add_i32 s15, s15, s14
	s_waitcnt vmcnt(0)
	v_add_co_u32 v10, vcc_lo, v6, s16
	v_add_co_ci_u32_e64 v11, null, s15, v7, vcc_lo
	s_and_saveexec_b32 s14, s4
	s_cbranch_execz .LBB1_230
; %bb.229:
	v_mov_b32_e32 v12, s5
	v_mov_b32_e32 v13, v2
	;; [unrolled: 1-line block ×4, first 2 shown]
	global_store_dwordx4 v[10:11], v[12:15], off offset:8
.LBB1_230:
	s_or_b32 exec_lo, exec_lo, s14
	s_lshl_b64 s[12:13], s[12:13], 12
	v_and_or_b32 v0, 0xffffff1f, v0, 32
	v_add_co_u32 v8, vcc_lo, v8, s12
	v_add_co_ci_u32_e64 v9, null, s13, v9, vcc_lo
	s_mov_b32 s12, 0
	v_readfirstlane_b32 s16, v8
	v_add_co_u32 v8, vcc_lo, v8, v33
	s_mov_b32 s13, s12
	s_mov_b32 s14, s12
	;; [unrolled: 1-line block ×3, first 2 shown]
	v_mov_b32_e32 v3, v2
	v_readfirstlane_b32 s17, v9
	v_mov_b32_e32 v12, s12
	v_add_co_ci_u32_e64 v9, null, 0, v9, vcc_lo
	v_mov_b32_e32 v13, s13
	v_mov_b32_e32 v14, s14
	;; [unrolled: 1-line block ×3, first 2 shown]
	global_store_dwordx4 v33, v[0:3], s[16:17]
	global_store_dwordx4 v33, v[12:15], s[16:17] offset:16
	global_store_dwordx4 v33, v[12:15], s[16:17] offset:32
	;; [unrolled: 1-line block ×3, first 2 shown]
	s_and_saveexec_b32 s5, s4
	s_cbranch_execz .LBB1_238
; %bb.231:
	v_mov_b32_e32 v12, 0
	v_mov_b32_e32 v13, s10
	;; [unrolled: 1-line block ×3, first 2 shown]
	s_clause 0x1
	global_load_dwordx2 v[15:16], v12, s[6:7] offset:32 glc dlc
	global_load_dwordx2 v[0:1], v12, s[6:7] offset:40
	s_waitcnt vmcnt(0)
	v_readfirstlane_b32 s12, v0
	v_readfirstlane_b32 s13, v1
	s_and_b64 s[12:13], s[12:13], s[10:11]
	s_mul_i32 s13, s13, 24
	s_mul_hi_u32 s14, s12, 24
	s_mul_i32 s12, s12, 24
	s_add_i32 s14, s14, s13
	v_add_co_u32 v6, vcc_lo, v6, s12
	v_add_co_ci_u32_e64 v7, null, s14, v7, vcc_lo
	s_mov_b32 s12, exec_lo
	global_store_dwordx2 v[6:7], v[15:16], off
	s_waitcnt_vscnt null, 0x0
	global_atomic_cmpswap_x2 v[2:3], v12, v[13:16], s[6:7] offset:32 glc
	s_waitcnt vmcnt(0)
	v_cmpx_ne_u64_e64 v[2:3], v[15:16]
	s_cbranch_execz .LBB1_234
; %bb.232:
	s_mov_b32 s13, 0
.LBB1_233:                              ; =>This Inner Loop Header: Depth=1
	v_mov_b32_e32 v0, s10
	v_mov_b32_e32 v1, s11
	s_sleep 1
	global_store_dwordx2 v[6:7], v[2:3], off
	s_waitcnt_vscnt null, 0x0
	global_atomic_cmpswap_x2 v[0:1], v12, v[0:3], s[6:7] offset:32 glc
	s_waitcnt vmcnt(0)
	v_cmp_eq_u64_e32 vcc_lo, v[0:1], v[2:3]
	v_mov_b32_e32 v3, v1
	v_mov_b32_e32 v2, v0
	s_or_b32 s13, vcc_lo, s13
	s_andn2_b32 exec_lo, exec_lo, s13
	s_cbranch_execnz .LBB1_233
.LBB1_234:
	s_or_b32 exec_lo, exec_lo, s12
	v_mov_b32_e32 v3, 0
	s_mov_b32 s13, exec_lo
	s_mov_b32 s12, exec_lo
	v_mbcnt_lo_u32_b32 v2, s13, 0
	global_load_dwordx2 v[0:1], v3, s[6:7] offset:16
	v_cmpx_eq_u32_e32 0, v2
	s_cbranch_execz .LBB1_236
; %bb.235:
	s_bcnt1_i32_b32 s13, s13
	v_mov_b32_e32 v2, s13
	s_waitcnt vmcnt(0)
	global_atomic_add_x2 v[0:1], v[2:3], off offset:8
.LBB1_236:
	s_or_b32 exec_lo, exec_lo, s12
	s_waitcnt vmcnt(0)
	global_load_dwordx2 v[2:3], v[0:1], off offset:16
	s_waitcnt vmcnt(0)
	v_cmp_eq_u64_e32 vcc_lo, 0, v[2:3]
	s_cbranch_vccnz .LBB1_238
; %bb.237:
	global_load_dword v0, v[0:1], off offset:24
	v_mov_b32_e32 v1, 0
	s_waitcnt vmcnt(0)
	v_readfirstlane_b32 s12, v0
	s_waitcnt_vscnt null, 0x0
	global_store_dwordx2 v[2:3], v[0:1], off
	s_and_b32 m0, s12, 0x7fffff
	s_sendmsg sendmsg(MSG_INTERRUPT)
.LBB1_238:
	s_or_b32 exec_lo, exec_lo, s5
	s_branch .LBB1_242
	.p2align	6
.LBB1_239:                              ;   in Loop: Header=BB1_242 Depth=1
	s_or_b32 exec_lo, exec_lo, s5
	v_readfirstlane_b32 s5, v0
	s_cmp_eq_u32 s5, 0
	s_cbranch_scc1 .LBB1_241
; %bb.240:                              ;   in Loop: Header=BB1_242 Depth=1
	s_sleep 1
	s_cbranch_execnz .LBB1_242
	s_branch .LBB1_244
	.p2align	6
.LBB1_241:
	s_branch .LBB1_244
.LBB1_242:                              ; =>This Inner Loop Header: Depth=1
	v_mov_b32_e32 v0, 1
	s_and_saveexec_b32 s5, s4
	s_cbranch_execz .LBB1_239
; %bb.243:                              ;   in Loop: Header=BB1_242 Depth=1
	global_load_dword v0, v[10:11], off offset:20 glc dlc
	s_waitcnt vmcnt(0)
	buffer_gl1_inv
	buffer_gl0_inv
	v_and_b32_e32 v0, 1, v0
	s_branch .LBB1_239
.LBB1_244:
	global_load_dwordx2 v[6:7], v[8:9], off
	s_and_saveexec_b32 s12, s4
	s_cbranch_execz .LBB1_248
; %bb.245:
	v_mov_b32_e32 v10, 0
	s_clause 0x2
	global_load_dwordx2 v[0:1], v10, s[6:7] offset:40
	global_load_dwordx2 v[13:14], v10, s[6:7] offset:24 glc dlc
	global_load_dwordx2 v[2:3], v10, s[6:7]
	s_waitcnt vmcnt(2)
	v_readfirstlane_b32 s14, v0
	v_readfirstlane_b32 s15, v1
	s_add_u32 s13, s14, 1
	s_addc_u32 s16, s15, 0
	s_add_u32 s4, s13, s10
	s_addc_u32 s5, s16, s11
	s_cmp_eq_u64 s[4:5], 0
	s_cselect_b32 s5, s16, s5
	s_cselect_b32 s4, s13, s4
	v_mov_b32_e32 v12, s5
	s_and_b64 s[10:11], s[4:5], s[14:15]
	v_mov_b32_e32 v11, s4
	s_mul_i32 s11, s11, 24
	s_mul_hi_u32 s13, s10, 24
	s_mul_i32 s10, s10, 24
	s_add_i32 s13, s13, s11
	s_waitcnt vmcnt(0)
	v_add_co_u32 v8, vcc_lo, v2, s10
	v_add_co_ci_u32_e64 v9, null, s13, v3, vcc_lo
	global_store_dwordx2 v[8:9], v[13:14], off
	s_waitcnt_vscnt null, 0x0
	global_atomic_cmpswap_x2 v[2:3], v10, v[11:14], s[6:7] offset:24 glc
	s_waitcnt vmcnt(0)
	v_cmp_ne_u64_e32 vcc_lo, v[2:3], v[13:14]
	s_and_b32 exec_lo, exec_lo, vcc_lo
	s_cbranch_execz .LBB1_248
; %bb.246:
	s_mov_b32 s10, 0
.LBB1_247:                              ; =>This Inner Loop Header: Depth=1
	v_mov_b32_e32 v0, s4
	v_mov_b32_e32 v1, s5
	s_sleep 1
	global_store_dwordx2 v[8:9], v[2:3], off
	s_waitcnt_vscnt null, 0x0
	global_atomic_cmpswap_x2 v[0:1], v10, v[0:3], s[6:7] offset:24 glc
	s_waitcnt vmcnt(0)
	v_cmp_eq_u64_e32 vcc_lo, v[0:1], v[2:3]
	v_mov_b32_e32 v3, v1
	v_mov_b32_e32 v2, v0
	s_or_b32 s10, vcc_lo, s10
	s_andn2_b32 exec_lo, exec_lo, s10
	s_cbranch_execnz .LBB1_247
.LBB1_248:
	s_or_b32 exec_lo, exec_lo, s12
.LBB1_249:
	v_readfirstlane_b32 s4, v32
	v_mov_b32_e32 v10, 0
	v_mov_b32_e32 v11, 0
	v_cmp_eq_u32_e64 s4, s4, v32
	s_and_saveexec_b32 s5, s4
	s_cbranch_execz .LBB1_255
; %bb.250:
	s_waitcnt vmcnt(0)
	v_mov_b32_e32 v0, 0
	s_mov_b32 s10, exec_lo
	global_load_dwordx2 v[12:13], v0, s[6:7] offset:24 glc dlc
	s_waitcnt vmcnt(0)
	buffer_gl1_inv
	buffer_gl0_inv
	s_clause 0x1
	global_load_dwordx2 v[1:2], v0, s[6:7] offset:40
	global_load_dwordx2 v[8:9], v0, s[6:7]
	s_waitcnt vmcnt(1)
	v_and_b32_e32 v2, v2, v13
	v_and_b32_e32 v1, v1, v12
	v_mul_lo_u32 v2, v2, 24
	v_mul_hi_u32 v3, v1, 24
	v_mul_lo_u32 v1, v1, 24
	v_add_nc_u32_e32 v2, v3, v2
	s_waitcnt vmcnt(0)
	v_add_co_u32 v1, vcc_lo, v8, v1
	v_add_co_ci_u32_e64 v2, null, v9, v2, vcc_lo
	global_load_dwordx2 v[10:11], v[1:2], off glc dlc
	s_waitcnt vmcnt(0)
	global_atomic_cmpswap_x2 v[10:11], v0, v[10:13], s[6:7] offset:24 glc
	s_waitcnt vmcnt(0)
	buffer_gl1_inv
	buffer_gl0_inv
	v_cmpx_ne_u64_e64 v[10:11], v[12:13]
	s_cbranch_execz .LBB1_254
; %bb.251:
	s_mov_b32 s11, 0
	.p2align	6
.LBB1_252:                              ; =>This Inner Loop Header: Depth=1
	s_sleep 1
	s_clause 0x1
	global_load_dwordx2 v[1:2], v0, s[6:7] offset:40
	global_load_dwordx2 v[8:9], v0, s[6:7]
	v_mov_b32_e32 v13, v11
	v_mov_b32_e32 v12, v10
	s_waitcnt vmcnt(1)
	v_and_b32_e32 v1, v1, v12
	v_and_b32_e32 v2, v2, v13
	s_waitcnt vmcnt(0)
	v_mad_u64_u32 v[8:9], null, v1, 24, v[8:9]
	v_mov_b32_e32 v1, v9
	v_mad_u64_u32 v[1:2], null, v2, 24, v[1:2]
	v_mov_b32_e32 v9, v1
	global_load_dwordx2 v[10:11], v[8:9], off glc dlc
	s_waitcnt vmcnt(0)
	global_atomic_cmpswap_x2 v[10:11], v0, v[10:13], s[6:7] offset:24 glc
	s_waitcnt vmcnt(0)
	buffer_gl1_inv
	buffer_gl0_inv
	v_cmp_eq_u64_e32 vcc_lo, v[10:11], v[12:13]
	s_or_b32 s11, vcc_lo, s11
	s_andn2_b32 exec_lo, exec_lo, s11
	s_cbranch_execnz .LBB1_252
; %bb.253:
	s_or_b32 exec_lo, exec_lo, s11
.LBB1_254:
	s_or_b32 exec_lo, exec_lo, s10
.LBB1_255:
	s_or_b32 exec_lo, exec_lo, s5
	v_mov_b32_e32 v9, 0
	v_readfirstlane_b32 s11, v11
	v_readfirstlane_b32 s10, v10
	s_mov_b32 s5, exec_lo
	s_clause 0x1
	global_load_dwordx2 v[12:13], v9, s[6:7] offset:40
	global_load_dwordx4 v[0:3], v9, s[6:7]
	s_waitcnt vmcnt(1)
	v_readfirstlane_b32 s12, v12
	v_readfirstlane_b32 s13, v13
	s_and_b64 s[12:13], s[12:13], s[10:11]
	s_mul_i32 s14, s13, 24
	s_mul_hi_u32 s15, s12, 24
	s_mul_i32 s16, s12, 24
	s_add_i32 s15, s15, s14
	s_waitcnt vmcnt(0)
	v_add_co_u32 v10, vcc_lo, v0, s16
	v_add_co_ci_u32_e64 v11, null, s15, v1, vcc_lo
	s_and_saveexec_b32 s14, s4
	s_cbranch_execz .LBB1_257
; %bb.256:
	v_mov_b32_e32 v8, s5
	v_mov_b32_e32 v13, v9
	;; [unrolled: 1-line block ×5, first 2 shown]
	global_store_dwordx4 v[10:11], v[12:15], off offset:8
.LBB1_257:
	s_or_b32 exec_lo, exec_lo, s14
	s_lshl_b64 s[12:13], s[12:13], 12
	v_and_or_b32 v6, 0xffffff1f, v6, 32
	v_add_co_u32 v2, vcc_lo, v2, s12
	v_add_co_ci_u32_e64 v3, null, s13, v3, vcc_lo
	s_mov_b32 s12, 0
	v_add_co_u32 v12, vcc_lo, v2, v33
	s_mov_b32 s15, s12
	s_mov_b32 s13, s12
	;; [unrolled: 1-line block ×3, first 2 shown]
	v_mov_b32_e32 v8, 0x331
	v_readfirstlane_b32 s16, v2
	v_readfirstlane_b32 s17, v3
	v_mov_b32_e32 v17, s15
	v_add_co_ci_u32_e64 v13, null, 0, v3, vcc_lo
	v_mov_b32_e32 v16, s14
	v_mov_b32_e32 v15, s13
	;; [unrolled: 1-line block ×3, first 2 shown]
	global_store_dwordx4 v33, v[6:9], s[16:17]
	global_store_dwordx4 v33, v[14:17], s[16:17] offset:16
	global_store_dwordx4 v33, v[14:17], s[16:17] offset:32
	;; [unrolled: 1-line block ×3, first 2 shown]
	s_and_saveexec_b32 s5, s4
	s_cbranch_execz .LBB1_265
; %bb.258:
	v_mov_b32_e32 v8, 0
	v_mov_b32_e32 v14, s10
	;; [unrolled: 1-line block ×3, first 2 shown]
	s_clause 0x1
	global_load_dwordx2 v[16:17], v8, s[6:7] offset:32 glc dlc
	global_load_dwordx2 v[2:3], v8, s[6:7] offset:40
	s_waitcnt vmcnt(0)
	v_readfirstlane_b32 s12, v2
	v_readfirstlane_b32 s13, v3
	s_and_b64 s[12:13], s[12:13], s[10:11]
	s_mul_i32 s13, s13, 24
	s_mul_hi_u32 s14, s12, 24
	s_mul_i32 s12, s12, 24
	s_add_i32 s14, s14, s13
	v_add_co_u32 v6, vcc_lo, v0, s12
	v_add_co_ci_u32_e64 v7, null, s14, v1, vcc_lo
	s_mov_b32 s12, exec_lo
	global_store_dwordx2 v[6:7], v[16:17], off
	s_waitcnt_vscnt null, 0x0
	global_atomic_cmpswap_x2 v[2:3], v8, v[14:17], s[6:7] offset:32 glc
	s_waitcnt vmcnt(0)
	v_cmpx_ne_u64_e64 v[2:3], v[16:17]
	s_cbranch_execz .LBB1_261
; %bb.259:
	s_mov_b32 s13, 0
.LBB1_260:                              ; =>This Inner Loop Header: Depth=1
	v_mov_b32_e32 v0, s10
	v_mov_b32_e32 v1, s11
	s_sleep 1
	global_store_dwordx2 v[6:7], v[2:3], off
	s_waitcnt_vscnt null, 0x0
	global_atomic_cmpswap_x2 v[0:1], v8, v[0:3], s[6:7] offset:32 glc
	s_waitcnt vmcnt(0)
	v_cmp_eq_u64_e32 vcc_lo, v[0:1], v[2:3]
	v_mov_b32_e32 v3, v1
	v_mov_b32_e32 v2, v0
	s_or_b32 s13, vcc_lo, s13
	s_andn2_b32 exec_lo, exec_lo, s13
	s_cbranch_execnz .LBB1_260
.LBB1_261:
	s_or_b32 exec_lo, exec_lo, s12
	v_mov_b32_e32 v3, 0
	s_mov_b32 s13, exec_lo
	s_mov_b32 s12, exec_lo
	v_mbcnt_lo_u32_b32 v2, s13, 0
	global_load_dwordx2 v[0:1], v3, s[6:7] offset:16
	v_cmpx_eq_u32_e32 0, v2
	s_cbranch_execz .LBB1_263
; %bb.262:
	s_bcnt1_i32_b32 s13, s13
	v_mov_b32_e32 v2, s13
	s_waitcnt vmcnt(0)
	global_atomic_add_x2 v[0:1], v[2:3], off offset:8
.LBB1_263:
	s_or_b32 exec_lo, exec_lo, s12
	s_waitcnt vmcnt(0)
	global_load_dwordx2 v[2:3], v[0:1], off offset:16
	s_waitcnt vmcnt(0)
	v_cmp_eq_u64_e32 vcc_lo, 0, v[2:3]
	s_cbranch_vccnz .LBB1_265
; %bb.264:
	global_load_dword v0, v[0:1], off offset:24
	v_mov_b32_e32 v1, 0
	s_waitcnt vmcnt(0)
	v_readfirstlane_b32 s12, v0
	s_waitcnt_vscnt null, 0x0
	global_store_dwordx2 v[2:3], v[0:1], off
	s_and_b32 m0, s12, 0x7fffff
	s_sendmsg sendmsg(MSG_INTERRUPT)
.LBB1_265:
	s_or_b32 exec_lo, exec_lo, s5
	s_branch .LBB1_269
	.p2align	6
.LBB1_266:                              ;   in Loop: Header=BB1_269 Depth=1
	s_or_b32 exec_lo, exec_lo, s5
	v_readfirstlane_b32 s5, v0
	s_cmp_eq_u32 s5, 0
	s_cbranch_scc1 .LBB1_268
; %bb.267:                              ;   in Loop: Header=BB1_269 Depth=1
	s_sleep 1
	s_cbranch_execnz .LBB1_269
	s_branch .LBB1_271
	.p2align	6
.LBB1_268:
	s_branch .LBB1_271
.LBB1_269:                              ; =>This Inner Loop Header: Depth=1
	v_mov_b32_e32 v0, 1
	s_and_saveexec_b32 s5, s4
	s_cbranch_execz .LBB1_266
; %bb.270:                              ;   in Loop: Header=BB1_269 Depth=1
	global_load_dword v0, v[10:11], off offset:20 glc dlc
	s_waitcnt vmcnt(0)
	buffer_gl1_inv
	buffer_gl0_inv
	v_and_b32_e32 v0, 1, v0
	s_branch .LBB1_266
.LBB1_271:
	global_load_dwordx2 v[0:1], v[12:13], off
	s_and_saveexec_b32 s12, s4
	s_cbranch_execz .LBB1_275
; %bb.272:
	v_mov_b32_e32 v10, 0
	s_clause 0x2
	global_load_dwordx2 v[2:3], v10, s[6:7] offset:40
	global_load_dwordx2 v[13:14], v10, s[6:7] offset:24 glc dlc
	global_load_dwordx2 v[6:7], v10, s[6:7]
	s_waitcnt vmcnt(2)
	v_readfirstlane_b32 s14, v2
	v_readfirstlane_b32 s15, v3
	s_add_u32 s13, s14, 1
	s_addc_u32 s16, s15, 0
	s_add_u32 s4, s13, s10
	s_addc_u32 s5, s16, s11
	s_cmp_eq_u64 s[4:5], 0
	s_cselect_b32 s5, s16, s5
	s_cselect_b32 s4, s13, s4
	v_mov_b32_e32 v12, s5
	s_and_b64 s[10:11], s[4:5], s[14:15]
	v_mov_b32_e32 v11, s4
	s_mul_i32 s11, s11, 24
	s_mul_hi_u32 s13, s10, 24
	s_mul_i32 s10, s10, 24
	s_add_i32 s13, s13, s11
	s_waitcnt vmcnt(0)
	v_add_co_u32 v2, vcc_lo, v6, s10
	v_add_co_ci_u32_e64 v3, null, s13, v7, vcc_lo
	global_store_dwordx2 v[2:3], v[13:14], off
	s_waitcnt_vscnt null, 0x0
	global_atomic_cmpswap_x2 v[8:9], v10, v[11:14], s[6:7] offset:24 glc
	s_waitcnt vmcnt(0)
	v_cmp_ne_u64_e32 vcc_lo, v[8:9], v[13:14]
	s_and_b32 exec_lo, exec_lo, vcc_lo
	s_cbranch_execz .LBB1_275
; %bb.273:
	s_mov_b32 s10, 0
.LBB1_274:                              ; =>This Inner Loop Header: Depth=1
	v_mov_b32_e32 v6, s4
	v_mov_b32_e32 v7, s5
	s_sleep 1
	global_store_dwordx2 v[2:3], v[8:9], off
	s_waitcnt_vscnt null, 0x0
	global_atomic_cmpswap_x2 v[6:7], v10, v[6:9], s[6:7] offset:24 glc
	s_waitcnt vmcnt(0)
	v_cmp_eq_u64_e32 vcc_lo, v[6:7], v[8:9]
	v_mov_b32_e32 v9, v7
	v_mov_b32_e32 v8, v6
	s_or_b32 s10, vcc_lo, s10
	s_andn2_b32 exec_lo, exec_lo, s10
	s_cbranch_execnz .LBB1_274
.LBB1_275:
	s_or_b32 exec_lo, exec_lo, s12
	v_mov_b32_e32 v7, v5
	v_mov_b32_e32 v6, v4
	s_mov_b32 s4, 0
.LBB1_276:                              ; =>This Inner Loop Header: Depth=1
	global_load_ubyte v8, v[6:7], off
	v_add_co_u32 v2, vcc_lo, v6, 1
	v_add_co_ci_u32_e64 v3, null, 0, v7, vcc_lo
	v_mov_b32_e32 v7, v3
	v_mov_b32_e32 v6, v2
	s_waitcnt vmcnt(0)
	v_cmp_eq_u16_e32 vcc_lo, 0, v8
	s_or_b32 s4, vcc_lo, s4
	s_andn2_b32 exec_lo, exec_lo, s4
	s_cbranch_execnz .LBB1_276
; %bb.277:
	s_or_b32 exec_lo, exec_lo, s4
	s_mov_b32 s4, exec_lo
	v_cmpx_ne_u64_e32 0, v[4:5]
	s_xor_b32 s14, exec_lo, s4
	s_cbranch_execz .LBB1_363
; %bb.278:
	v_sub_nc_u32_e32 v26, v2, v4
	v_and_b32_e32 v34, 2, v0
	v_mov_b32_e32 v7, 0
	v_and_b32_e32 v0, -3, v0
	v_mov_b32_e32 v8, 2
	v_ashrrev_i32_e32 v27, 31, v26
	v_mov_b32_e32 v9, 1
	s_mov_b32 s16, 0
	s_mov_b32 s15, 0
	s_branch .LBB1_280
.LBB1_279:                              ;   in Loop: Header=BB1_280 Depth=1
	s_or_b32 exec_lo, exec_lo, s12
	v_sub_co_u32 v26, vcc_lo, v26, v28
	v_sub_co_ci_u32_e64 v27, null, v27, v29, vcc_lo
	v_add_co_u32 v4, s4, v4, v28
	v_add_co_ci_u32_e64 v5, null, v5, v29, s4
	v_cmp_eq_u64_e32 vcc_lo, 0, v[26:27]
	s_or_b32 s15, vcc_lo, s15
	s_andn2_b32 exec_lo, exec_lo, s15
	s_cbranch_execz .LBB1_362
.LBB1_280:                              ; =>This Loop Header: Depth=1
                                        ;     Child Loop BB1_283 Depth 2
                                        ;     Child Loop BB1_291 Depth 2
	;; [unrolled: 1-line block ×11, first 2 shown]
	v_cmp_gt_u64_e32 vcc_lo, 56, v[26:27]
	s_mov_b32 s5, exec_lo
	v_cndmask_b32_e32 v29, 0, v27, vcc_lo
	v_cndmask_b32_e32 v28, 56, v26, vcc_lo
	v_add_co_u32 v12, vcc_lo, v4, 8
	v_add_co_ci_u32_e64 v13, null, 0, v5, vcc_lo
	v_cmpx_gt_u64_e32 8, v[26:27]
	s_xor_b32 s5, exec_lo, s5
	s_cbranch_execz .LBB1_286
; %bb.281:                              ;   in Loop: Header=BB1_280 Depth=1
	v_mov_b32_e32 v2, 0
	v_mov_b32_e32 v3, 0
	s_mov_b32 s12, exec_lo
	v_cmpx_ne_u64_e32 0, v[26:27]
	s_cbranch_execz .LBB1_285
; %bb.282:                              ;   in Loop: Header=BB1_280 Depth=1
	v_lshlrev_b64 v[10:11], 3, v[28:29]
	v_mov_b32_e32 v2, 0
	v_mov_b32_e32 v12, v5
	;; [unrolled: 1-line block ×4, first 2 shown]
	s_mov_b64 s[10:11], 0
	s_mov_b32 s13, 0
	.p2align	6
.LBB1_283:                              ;   Parent Loop BB1_280 Depth=1
                                        ; =>  This Inner Loop Header: Depth=2
	global_load_ubyte v6, v[11:12], off
	v_mov_b32_e32 v14, s16
	v_add_co_u32 v11, vcc_lo, v11, 1
	v_add_co_ci_u32_e64 v12, null, 0, v12, vcc_lo
	s_waitcnt vmcnt(0)
	v_and_b32_e32 v13, 0xffff, v6
	v_lshlrev_b64 v[13:14], s10, v[13:14]
	s_add_u32 s10, s10, 8
	s_addc_u32 s11, s11, 0
	v_cmp_eq_u32_e64 s4, s10, v10
	v_or_b32_e32 v3, v14, v3
	v_or_b32_e32 v2, v13, v2
	s_or_b32 s13, s4, s13
	s_andn2_b32 exec_lo, exec_lo, s13
	s_cbranch_execnz .LBB1_283
; %bb.284:                              ;   in Loop: Header=BB1_280 Depth=1
	s_or_b32 exec_lo, exec_lo, s13
.LBB1_285:                              ;   in Loop: Header=BB1_280 Depth=1
	s_or_b32 exec_lo, exec_lo, s12
	v_mov_b32_e32 v13, v5
	v_mov_b32_e32 v12, v4
.LBB1_286:                              ;   in Loop: Header=BB1_280 Depth=1
	s_or_saveexec_b32 s4, s5
	v_mov_b32_e32 v6, 0
	s_xor_b32 exec_lo, exec_lo, s4
	s_cbranch_execz .LBB1_288
; %bb.287:                              ;   in Loop: Header=BB1_280 Depth=1
	global_load_dwordx2 v[2:3], v[4:5], off
	v_add_nc_u32_e32 v6, -8, v28
.LBB1_288:                              ;   in Loop: Header=BB1_280 Depth=1
	s_or_b32 exec_lo, exec_lo, s4
	v_add_co_u32 v14, s4, v12, 8
	v_add_co_ci_u32_e64 v15, null, 0, v13, s4
                                        ; implicit-def: $vgpr10_vgpr11
	s_mov_b32 s4, exec_lo
	v_cmpx_gt_u32_e32 8, v6
	s_xor_b32 s12, exec_lo, s4
	s_cbranch_execz .LBB1_294
; %bb.289:                              ;   in Loop: Header=BB1_280 Depth=1
	v_mov_b32_e32 v10, 0
	v_mov_b32_e32 v11, 0
	s_mov_b32 s13, exec_lo
	v_cmpx_ne_u32_e32 0, v6
	s_cbranch_execz .LBB1_293
; %bb.290:                              ;   in Loop: Header=BB1_280 Depth=1
	v_mov_b32_e32 v10, 0
	v_mov_b32_e32 v11, 0
	s_mov_b64 s[4:5], 0
	s_mov_b32 s17, 0
	s_mov_b64 s[10:11], 0
	.p2align	6
.LBB1_291:                              ;   Parent Loop BB1_280 Depth=1
                                        ; =>  This Inner Loop Header: Depth=2
	v_add_co_u32 v14, vcc_lo, v12, s10
	v_add_co_ci_u32_e64 v15, null, s11, v13, vcc_lo
	s_add_u32 s10, s10, 1
	s_addc_u32 s11, s11, 0
	v_cmp_eq_u32_e32 vcc_lo, s10, v6
	global_load_ubyte v14, v[14:15], off
	v_mov_b32_e32 v15, s16
	s_waitcnt vmcnt(0)
	v_and_b32_e32 v14, 0xffff, v14
	v_lshlrev_b64 v[14:15], s4, v[14:15]
	s_add_u32 s4, s4, 8
	s_addc_u32 s5, s5, 0
	s_or_b32 s17, vcc_lo, s17
	v_or_b32_e32 v11, v15, v11
	v_or_b32_e32 v10, v14, v10
	s_andn2_b32 exec_lo, exec_lo, s17
	s_cbranch_execnz .LBB1_291
; %bb.292:                              ;   in Loop: Header=BB1_280 Depth=1
	s_or_b32 exec_lo, exec_lo, s17
.LBB1_293:                              ;   in Loop: Header=BB1_280 Depth=1
	s_or_b32 exec_lo, exec_lo, s13
	v_mov_b32_e32 v15, v13
	v_mov_b32_e32 v14, v12
                                        ; implicit-def: $vgpr6
.LBB1_294:                              ;   in Loop: Header=BB1_280 Depth=1
	s_or_saveexec_b32 s4, s12
	v_mov_b32_e32 v18, 0
	s_xor_b32 exec_lo, exec_lo, s4
	s_cbranch_execz .LBB1_296
; %bb.295:                              ;   in Loop: Header=BB1_280 Depth=1
	global_load_dwordx2 v[10:11], v[12:13], off
	v_add_nc_u32_e32 v18, -8, v6
.LBB1_296:                              ;   in Loop: Header=BB1_280 Depth=1
	s_or_b32 exec_lo, exec_lo, s4
	v_add_co_u32 v16, s4, v14, 8
	v_add_co_ci_u32_e64 v17, null, 0, v15, s4
	s_mov_b32 s4, exec_lo
	v_cmpx_gt_u32_e32 8, v18
	s_xor_b32 s12, exec_lo, s4
	s_cbranch_execz .LBB1_302
; %bb.297:                              ;   in Loop: Header=BB1_280 Depth=1
	v_mov_b32_e32 v12, 0
	v_mov_b32_e32 v13, 0
	s_mov_b32 s13, exec_lo
	v_cmpx_ne_u32_e32 0, v18
	s_cbranch_execz .LBB1_301
; %bb.298:                              ;   in Loop: Header=BB1_280 Depth=1
	v_mov_b32_e32 v12, 0
	v_mov_b32_e32 v13, 0
	s_mov_b64 s[4:5], 0
	s_mov_b32 s17, 0
	s_mov_b64 s[10:11], 0
	.p2align	6
.LBB1_299:                              ;   Parent Loop BB1_280 Depth=1
                                        ; =>  This Inner Loop Header: Depth=2
	v_add_co_u32 v16, vcc_lo, v14, s10
	v_add_co_ci_u32_e64 v17, null, s11, v15, vcc_lo
	s_add_u32 s10, s10, 1
	s_addc_u32 s11, s11, 0
	v_cmp_eq_u32_e32 vcc_lo, s10, v18
	global_load_ubyte v6, v[16:17], off
	v_mov_b32_e32 v17, s16
	s_waitcnt vmcnt(0)
	v_and_b32_e32 v16, 0xffff, v6
	v_lshlrev_b64 v[16:17], s4, v[16:17]
	s_add_u32 s4, s4, 8
	s_addc_u32 s5, s5, 0
	s_or_b32 s17, vcc_lo, s17
	v_or_b32_e32 v13, v17, v13
	v_or_b32_e32 v12, v16, v12
	s_andn2_b32 exec_lo, exec_lo, s17
	s_cbranch_execnz .LBB1_299
; %bb.300:                              ;   in Loop: Header=BB1_280 Depth=1
	s_or_b32 exec_lo, exec_lo, s17
.LBB1_301:                              ;   in Loop: Header=BB1_280 Depth=1
	s_or_b32 exec_lo, exec_lo, s13
	v_mov_b32_e32 v17, v15
	v_mov_b32_e32 v16, v14
                                        ; implicit-def: $vgpr18
.LBB1_302:                              ;   in Loop: Header=BB1_280 Depth=1
	s_or_saveexec_b32 s4, s12
	v_mov_b32_e32 v6, 0
	s_xor_b32 exec_lo, exec_lo, s4
	s_cbranch_execz .LBB1_304
; %bb.303:                              ;   in Loop: Header=BB1_280 Depth=1
	global_load_dwordx2 v[12:13], v[14:15], off
	v_add_nc_u32_e32 v6, -8, v18
.LBB1_304:                              ;   in Loop: Header=BB1_280 Depth=1
	s_or_b32 exec_lo, exec_lo, s4
	v_add_co_u32 v18, s4, v16, 8
	v_add_co_ci_u32_e64 v19, null, 0, v17, s4
                                        ; implicit-def: $vgpr14_vgpr15
	s_mov_b32 s4, exec_lo
	v_cmpx_gt_u32_e32 8, v6
	s_xor_b32 s12, exec_lo, s4
	s_cbranch_execz .LBB1_310
; %bb.305:                              ;   in Loop: Header=BB1_280 Depth=1
	v_mov_b32_e32 v14, 0
	v_mov_b32_e32 v15, 0
	s_mov_b32 s13, exec_lo
	v_cmpx_ne_u32_e32 0, v6
	s_cbranch_execz .LBB1_309
; %bb.306:                              ;   in Loop: Header=BB1_280 Depth=1
	v_mov_b32_e32 v14, 0
	v_mov_b32_e32 v15, 0
	s_mov_b64 s[4:5], 0
	s_mov_b32 s17, 0
	s_mov_b64 s[10:11], 0
	.p2align	6
.LBB1_307:                              ;   Parent Loop BB1_280 Depth=1
                                        ; =>  This Inner Loop Header: Depth=2
	v_add_co_u32 v18, vcc_lo, v16, s10
	v_add_co_ci_u32_e64 v19, null, s11, v17, vcc_lo
	s_add_u32 s10, s10, 1
	s_addc_u32 s11, s11, 0
	v_cmp_eq_u32_e32 vcc_lo, s10, v6
	global_load_ubyte v18, v[18:19], off
	v_mov_b32_e32 v19, s16
	s_waitcnt vmcnt(0)
	v_and_b32_e32 v18, 0xffff, v18
	v_lshlrev_b64 v[18:19], s4, v[18:19]
	s_add_u32 s4, s4, 8
	s_addc_u32 s5, s5, 0
	s_or_b32 s17, vcc_lo, s17
	v_or_b32_e32 v15, v19, v15
	v_or_b32_e32 v14, v18, v14
	s_andn2_b32 exec_lo, exec_lo, s17
	s_cbranch_execnz .LBB1_307
; %bb.308:                              ;   in Loop: Header=BB1_280 Depth=1
	s_or_b32 exec_lo, exec_lo, s17
.LBB1_309:                              ;   in Loop: Header=BB1_280 Depth=1
	s_or_b32 exec_lo, exec_lo, s13
	v_mov_b32_e32 v19, v17
	v_mov_b32_e32 v18, v16
                                        ; implicit-def: $vgpr6
.LBB1_310:                              ;   in Loop: Header=BB1_280 Depth=1
	s_or_saveexec_b32 s4, s12
	v_mov_b32_e32 v22, 0
	s_xor_b32 exec_lo, exec_lo, s4
	s_cbranch_execz .LBB1_312
; %bb.311:                              ;   in Loop: Header=BB1_280 Depth=1
	global_load_dwordx2 v[14:15], v[16:17], off
	v_add_nc_u32_e32 v22, -8, v6
.LBB1_312:                              ;   in Loop: Header=BB1_280 Depth=1
	s_or_b32 exec_lo, exec_lo, s4
	v_add_co_u32 v20, s4, v18, 8
	v_add_co_ci_u32_e64 v21, null, 0, v19, s4
	s_mov_b32 s4, exec_lo
	v_cmpx_gt_u32_e32 8, v22
	s_xor_b32 s12, exec_lo, s4
	s_cbranch_execz .LBB1_318
; %bb.313:                              ;   in Loop: Header=BB1_280 Depth=1
	v_mov_b32_e32 v16, 0
	v_mov_b32_e32 v17, 0
	s_mov_b32 s13, exec_lo
	v_cmpx_ne_u32_e32 0, v22
	s_cbranch_execz .LBB1_317
; %bb.314:                              ;   in Loop: Header=BB1_280 Depth=1
	v_mov_b32_e32 v16, 0
	v_mov_b32_e32 v17, 0
	s_mov_b64 s[4:5], 0
	s_mov_b32 s17, 0
	s_mov_b64 s[10:11], 0
	.p2align	6
.LBB1_315:                              ;   Parent Loop BB1_280 Depth=1
                                        ; =>  This Inner Loop Header: Depth=2
	v_add_co_u32 v20, vcc_lo, v18, s10
	v_add_co_ci_u32_e64 v21, null, s11, v19, vcc_lo
	s_add_u32 s10, s10, 1
	s_addc_u32 s11, s11, 0
	v_cmp_eq_u32_e32 vcc_lo, s10, v22
	global_load_ubyte v6, v[20:21], off
	v_mov_b32_e32 v21, s16
	s_waitcnt vmcnt(0)
	v_and_b32_e32 v20, 0xffff, v6
	v_lshlrev_b64 v[20:21], s4, v[20:21]
	s_add_u32 s4, s4, 8
	s_addc_u32 s5, s5, 0
	s_or_b32 s17, vcc_lo, s17
	v_or_b32_e32 v17, v21, v17
	v_or_b32_e32 v16, v20, v16
	s_andn2_b32 exec_lo, exec_lo, s17
	s_cbranch_execnz .LBB1_315
; %bb.316:                              ;   in Loop: Header=BB1_280 Depth=1
	s_or_b32 exec_lo, exec_lo, s17
.LBB1_317:                              ;   in Loop: Header=BB1_280 Depth=1
	s_or_b32 exec_lo, exec_lo, s13
	v_mov_b32_e32 v21, v19
	v_mov_b32_e32 v20, v18
                                        ; implicit-def: $vgpr22
.LBB1_318:                              ;   in Loop: Header=BB1_280 Depth=1
	s_or_saveexec_b32 s4, s12
	v_mov_b32_e32 v6, 0
	s_xor_b32 exec_lo, exec_lo, s4
	s_cbranch_execz .LBB1_320
; %bb.319:                              ;   in Loop: Header=BB1_280 Depth=1
	global_load_dwordx2 v[16:17], v[18:19], off
	v_add_nc_u32_e32 v6, -8, v22
.LBB1_320:                              ;   in Loop: Header=BB1_280 Depth=1
	s_or_b32 exec_lo, exec_lo, s4
	v_add_co_u32 v22, s4, v20, 8
	v_add_co_ci_u32_e64 v23, null, 0, v21, s4
                                        ; implicit-def: $vgpr18_vgpr19
	s_mov_b32 s4, exec_lo
	v_cmpx_gt_u32_e32 8, v6
	s_xor_b32 s12, exec_lo, s4
	s_cbranch_execz .LBB1_326
; %bb.321:                              ;   in Loop: Header=BB1_280 Depth=1
	v_mov_b32_e32 v18, 0
	v_mov_b32_e32 v19, 0
	s_mov_b32 s13, exec_lo
	v_cmpx_ne_u32_e32 0, v6
	s_cbranch_execz .LBB1_325
; %bb.322:                              ;   in Loop: Header=BB1_280 Depth=1
	v_mov_b32_e32 v18, 0
	v_mov_b32_e32 v19, 0
	s_mov_b64 s[4:5], 0
	s_mov_b32 s17, 0
	s_mov_b64 s[10:11], 0
	.p2align	6
.LBB1_323:                              ;   Parent Loop BB1_280 Depth=1
                                        ; =>  This Inner Loop Header: Depth=2
	v_add_co_u32 v22, vcc_lo, v20, s10
	v_add_co_ci_u32_e64 v23, null, s11, v21, vcc_lo
	s_add_u32 s10, s10, 1
	s_addc_u32 s11, s11, 0
	v_cmp_eq_u32_e32 vcc_lo, s10, v6
	global_load_ubyte v22, v[22:23], off
	v_mov_b32_e32 v23, s16
	s_waitcnt vmcnt(0)
	v_and_b32_e32 v22, 0xffff, v22
	v_lshlrev_b64 v[22:23], s4, v[22:23]
	s_add_u32 s4, s4, 8
	s_addc_u32 s5, s5, 0
	s_or_b32 s17, vcc_lo, s17
	v_or_b32_e32 v19, v23, v19
	v_or_b32_e32 v18, v22, v18
	s_andn2_b32 exec_lo, exec_lo, s17
	s_cbranch_execnz .LBB1_323
; %bb.324:                              ;   in Loop: Header=BB1_280 Depth=1
	s_or_b32 exec_lo, exec_lo, s17
.LBB1_325:                              ;   in Loop: Header=BB1_280 Depth=1
	s_or_b32 exec_lo, exec_lo, s13
	v_mov_b32_e32 v23, v21
	v_mov_b32_e32 v22, v20
                                        ; implicit-def: $vgpr6
.LBB1_326:                              ;   in Loop: Header=BB1_280 Depth=1
	s_or_saveexec_b32 s4, s12
	v_mov_b32_e32 v24, 0
	s_xor_b32 exec_lo, exec_lo, s4
	s_cbranch_execz .LBB1_328
; %bb.327:                              ;   in Loop: Header=BB1_280 Depth=1
	global_load_dwordx2 v[18:19], v[20:21], off
	v_add_nc_u32_e32 v24, -8, v6
.LBB1_328:                              ;   in Loop: Header=BB1_280 Depth=1
	s_or_b32 exec_lo, exec_lo, s4
	s_mov_b32 s4, exec_lo
	v_cmpx_gt_u32_e32 8, v24
	s_xor_b32 s10, exec_lo, s4
	s_cbranch_execz .LBB1_334
; %bb.329:                              ;   in Loop: Header=BB1_280 Depth=1
	v_mov_b32_e32 v20, 0
	v_mov_b32_e32 v21, 0
	s_mov_b32 s11, exec_lo
	v_cmpx_ne_u32_e32 0, v24
	s_cbranch_execz .LBB1_333
; %bb.330:                              ;   in Loop: Header=BB1_280 Depth=1
	v_mov_b32_e32 v20, 0
	v_mov_b32_e32 v21, 0
	s_mov_b64 s[4:5], 0
	s_mov_b32 s12, 0
	.p2align	6
.LBB1_331:                              ;   Parent Loop BB1_280 Depth=1
                                        ; =>  This Inner Loop Header: Depth=2
	global_load_ubyte v6, v[22:23], off
	v_mov_b32_e32 v31, s16
	v_add_nc_u32_e32 v24, -1, v24
	v_add_co_u32 v22, vcc_lo, v22, 1
	v_add_co_ci_u32_e64 v23, null, 0, v23, vcc_lo
	v_cmp_eq_u32_e32 vcc_lo, 0, v24
	s_waitcnt vmcnt(0)
	v_and_b32_e32 v30, 0xffff, v6
	v_lshlrev_b64 v[30:31], s4, v[30:31]
	s_add_u32 s4, s4, 8
	s_addc_u32 s5, s5, 0
	s_or_b32 s12, vcc_lo, s12
	v_or_b32_e32 v21, v31, v21
	v_or_b32_e32 v20, v30, v20
	s_andn2_b32 exec_lo, exec_lo, s12
	s_cbranch_execnz .LBB1_331
; %bb.332:                              ;   in Loop: Header=BB1_280 Depth=1
	s_or_b32 exec_lo, exec_lo, s12
.LBB1_333:                              ;   in Loop: Header=BB1_280 Depth=1
	s_or_b32 exec_lo, exec_lo, s11
                                        ; implicit-def: $vgpr22_vgpr23
.LBB1_334:                              ;   in Loop: Header=BB1_280 Depth=1
	s_andn2_saveexec_b32 s4, s10
	s_cbranch_execz .LBB1_336
; %bb.335:                              ;   in Loop: Header=BB1_280 Depth=1
	global_load_dwordx2 v[20:21], v[22:23], off
.LBB1_336:                              ;   in Loop: Header=BB1_280 Depth=1
	s_or_b32 exec_lo, exec_lo, s4
	v_readfirstlane_b32 s4, v32
	v_mov_b32_e32 v30, 0
	v_mov_b32_e32 v31, 0
	v_cmp_eq_u32_e64 s4, s4, v32
	s_and_saveexec_b32 s5, s4
	s_cbranch_execz .LBB1_342
; %bb.337:                              ;   in Loop: Header=BB1_280 Depth=1
	global_load_dwordx2 v[24:25], v7, s[6:7] offset:24 glc dlc
	s_waitcnt vmcnt(0)
	buffer_gl1_inv
	buffer_gl0_inv
	s_clause 0x1
	global_load_dwordx2 v[22:23], v7, s[6:7] offset:40
	global_load_dwordx2 v[30:31], v7, s[6:7]
	s_mov_b32 s10, exec_lo
	s_waitcnt vmcnt(1)
	v_and_b32_e32 v6, v23, v25
	v_and_b32_e32 v22, v22, v24
	v_mul_lo_u32 v6, v6, 24
	v_mul_hi_u32 v23, v22, 24
	v_mul_lo_u32 v22, v22, 24
	v_add_nc_u32_e32 v6, v23, v6
	s_waitcnt vmcnt(0)
	v_add_co_u32 v22, vcc_lo, v30, v22
	v_add_co_ci_u32_e64 v23, null, v31, v6, vcc_lo
	global_load_dwordx2 v[22:23], v[22:23], off glc dlc
	s_waitcnt vmcnt(0)
	global_atomic_cmpswap_x2 v[30:31], v7, v[22:25], s[6:7] offset:24 glc
	s_waitcnt vmcnt(0)
	buffer_gl1_inv
	buffer_gl0_inv
	v_cmpx_ne_u64_e64 v[30:31], v[24:25]
	s_cbranch_execz .LBB1_341
; %bb.338:                              ;   in Loop: Header=BB1_280 Depth=1
	s_mov_b32 s11, 0
	.p2align	6
.LBB1_339:                              ;   Parent Loop BB1_280 Depth=1
                                        ; =>  This Inner Loop Header: Depth=2
	s_sleep 1
	s_clause 0x1
	global_load_dwordx2 v[22:23], v7, s[6:7] offset:40
	global_load_dwordx2 v[35:36], v7, s[6:7]
	v_mov_b32_e32 v24, v30
	v_mov_b32_e32 v25, v31
	s_waitcnt vmcnt(1)
	v_and_b32_e32 v6, v22, v24
	v_and_b32_e32 v22, v23, v25
	s_waitcnt vmcnt(0)
	v_mad_u64_u32 v[30:31], null, v6, 24, v[35:36]
	v_mov_b32_e32 v6, v31
	v_mad_u64_u32 v[22:23], null, v22, 24, v[6:7]
	v_mov_b32_e32 v31, v22
	global_load_dwordx2 v[22:23], v[30:31], off glc dlc
	s_waitcnt vmcnt(0)
	global_atomic_cmpswap_x2 v[30:31], v7, v[22:25], s[6:7] offset:24 glc
	s_waitcnt vmcnt(0)
	buffer_gl1_inv
	buffer_gl0_inv
	v_cmp_eq_u64_e32 vcc_lo, v[30:31], v[24:25]
	s_or_b32 s11, vcc_lo, s11
	s_andn2_b32 exec_lo, exec_lo, s11
	s_cbranch_execnz .LBB1_339
; %bb.340:                              ;   in Loop: Header=BB1_280 Depth=1
	s_or_b32 exec_lo, exec_lo, s11
.LBB1_341:                              ;   in Loop: Header=BB1_280 Depth=1
	s_or_b32 exec_lo, exec_lo, s10
.LBB1_342:                              ;   in Loop: Header=BB1_280 Depth=1
	s_or_b32 exec_lo, exec_lo, s5
	s_clause 0x1
	global_load_dwordx2 v[35:36], v7, s[6:7] offset:40
	global_load_dwordx4 v[22:25], v7, s[6:7]
	v_readfirstlane_b32 s11, v31
	v_readfirstlane_b32 s10, v30
	s_mov_b32 s5, exec_lo
	s_waitcnt vmcnt(1)
	v_readfirstlane_b32 s12, v35
	v_readfirstlane_b32 s13, v36
	s_and_b64 s[12:13], s[12:13], s[10:11]
	s_mul_i32 s17, s13, 24
	s_mul_hi_u32 s18, s12, 24
	s_mul_i32 s19, s12, 24
	s_add_i32 s18, s18, s17
	s_waitcnt vmcnt(0)
	v_add_co_u32 v30, vcc_lo, v22, s19
	v_add_co_ci_u32_e64 v31, null, s18, v23, vcc_lo
	s_and_saveexec_b32 s17, s4
	s_cbranch_execz .LBB1_344
; %bb.343:                              ;   in Loop: Header=BB1_280 Depth=1
	v_mov_b32_e32 v6, s5
	global_store_dwordx4 v[30:31], v[6:9], off offset:8
.LBB1_344:                              ;   in Loop: Header=BB1_280 Depth=1
	s_or_b32 exec_lo, exec_lo, s17
	v_cmp_gt_u64_e32 vcc_lo, 57, v[26:27]
	s_lshl_b64 s[12:13], s[12:13], 12
	v_and_b32_e32 v0, 0xffffff1f, v0
	v_lshl_add_u32 v35, v28, 2, 28
	v_cndmask_b32_e32 v6, 0, v34, vcc_lo
	v_add_co_u32 v24, vcc_lo, v24, s12
	v_add_co_ci_u32_e64 v25, null, s13, v25, vcc_lo
	v_or_b32_e32 v0, v0, v6
	v_readfirstlane_b32 s12, v24
	v_readfirstlane_b32 s13, v25
	v_and_or_b32 v0, 0x1e0, v35, v0
	global_store_dwordx4 v33, v[10:13], s[12:13] offset:16
	global_store_dwordx4 v33, v[14:17], s[12:13] offset:32
	global_store_dwordx4 v33, v[0:3], s[12:13]
	global_store_dwordx4 v33, v[18:21], s[12:13] offset:48
	s_and_saveexec_b32 s5, s4
	s_cbranch_execz .LBB1_352
; %bb.345:                              ;   in Loop: Header=BB1_280 Depth=1
	s_clause 0x1
	global_load_dwordx2 v[14:15], v7, s[6:7] offset:32 glc dlc
	global_load_dwordx2 v[0:1], v7, s[6:7] offset:40
	v_mov_b32_e32 v12, s10
	v_mov_b32_e32 v13, s11
	s_waitcnt vmcnt(0)
	v_readfirstlane_b32 s12, v0
	v_readfirstlane_b32 s13, v1
	s_and_b64 s[12:13], s[12:13], s[10:11]
	s_mul_i32 s13, s13, 24
	s_mul_hi_u32 s17, s12, 24
	s_mul_i32 s12, s12, 24
	s_add_i32 s17, s17, s13
	v_add_co_u32 v10, vcc_lo, v22, s12
	v_add_co_ci_u32_e64 v11, null, s17, v23, vcc_lo
	s_mov_b32 s12, exec_lo
	global_store_dwordx2 v[10:11], v[14:15], off
	s_waitcnt_vscnt null, 0x0
	global_atomic_cmpswap_x2 v[2:3], v7, v[12:15], s[6:7] offset:32 glc
	s_waitcnt vmcnt(0)
	v_cmpx_ne_u64_e64 v[2:3], v[14:15]
	s_cbranch_execz .LBB1_348
; %bb.346:                              ;   in Loop: Header=BB1_280 Depth=1
	s_mov_b32 s13, 0
.LBB1_347:                              ;   Parent Loop BB1_280 Depth=1
                                        ; =>  This Inner Loop Header: Depth=2
	v_mov_b32_e32 v0, s10
	v_mov_b32_e32 v1, s11
	s_sleep 1
	global_store_dwordx2 v[10:11], v[2:3], off
	s_waitcnt_vscnt null, 0x0
	global_atomic_cmpswap_x2 v[0:1], v7, v[0:3], s[6:7] offset:32 glc
	s_waitcnt vmcnt(0)
	v_cmp_eq_u64_e32 vcc_lo, v[0:1], v[2:3]
	v_mov_b32_e32 v3, v1
	v_mov_b32_e32 v2, v0
	s_or_b32 s13, vcc_lo, s13
	s_andn2_b32 exec_lo, exec_lo, s13
	s_cbranch_execnz .LBB1_347
.LBB1_348:                              ;   in Loop: Header=BB1_280 Depth=1
	s_or_b32 exec_lo, exec_lo, s12
	global_load_dwordx2 v[0:1], v7, s[6:7] offset:16
	s_mov_b32 s13, exec_lo
	s_mov_b32 s12, exec_lo
	v_mbcnt_lo_u32_b32 v2, s13, 0
	v_cmpx_eq_u32_e32 0, v2
	s_cbranch_execz .LBB1_350
; %bb.349:                              ;   in Loop: Header=BB1_280 Depth=1
	s_bcnt1_i32_b32 s13, s13
	v_mov_b32_e32 v6, s13
	s_waitcnt vmcnt(0)
	global_atomic_add_x2 v[0:1], v[6:7], off offset:8
.LBB1_350:                              ;   in Loop: Header=BB1_280 Depth=1
	s_or_b32 exec_lo, exec_lo, s12
	s_waitcnt vmcnt(0)
	global_load_dwordx2 v[2:3], v[0:1], off offset:16
	s_waitcnt vmcnt(0)
	v_cmp_eq_u64_e32 vcc_lo, 0, v[2:3]
	s_cbranch_vccnz .LBB1_352
; %bb.351:                              ;   in Loop: Header=BB1_280 Depth=1
	global_load_dword v6, v[0:1], off offset:24
	s_waitcnt vmcnt(0)
	v_readfirstlane_b32 s12, v6
	s_waitcnt_vscnt null, 0x0
	global_store_dwordx2 v[2:3], v[6:7], off
	s_and_b32 m0, s12, 0x7fffff
	s_sendmsg sendmsg(MSG_INTERRUPT)
.LBB1_352:                              ;   in Loop: Header=BB1_280 Depth=1
	s_or_b32 exec_lo, exec_lo, s5
	v_add_co_u32 v0, vcc_lo, v24, v33
	v_add_co_ci_u32_e64 v1, null, 0, v25, vcc_lo
	s_branch .LBB1_356
	.p2align	6
.LBB1_353:                              ;   in Loop: Header=BB1_356 Depth=2
	s_or_b32 exec_lo, exec_lo, s5
	v_readfirstlane_b32 s5, v2
	s_cmp_eq_u32 s5, 0
	s_cbranch_scc1 .LBB1_355
; %bb.354:                              ;   in Loop: Header=BB1_356 Depth=2
	s_sleep 1
	s_cbranch_execnz .LBB1_356
	s_branch .LBB1_358
	.p2align	6
.LBB1_355:                              ;   in Loop: Header=BB1_280 Depth=1
	s_branch .LBB1_358
.LBB1_356:                              ;   Parent Loop BB1_280 Depth=1
                                        ; =>  This Inner Loop Header: Depth=2
	v_mov_b32_e32 v2, 1
	s_and_saveexec_b32 s5, s4
	s_cbranch_execz .LBB1_353
; %bb.357:                              ;   in Loop: Header=BB1_356 Depth=2
	global_load_dword v2, v[30:31], off offset:20 glc dlc
	s_waitcnt vmcnt(0)
	buffer_gl1_inv
	buffer_gl0_inv
	v_and_b32_e32 v2, 1, v2
	s_branch .LBB1_353
.LBB1_358:                              ;   in Loop: Header=BB1_280 Depth=1
	global_load_dwordx2 v[0:1], v[0:1], off
	s_and_saveexec_b32 s12, s4
	s_cbranch_execz .LBB1_279
; %bb.359:                              ;   in Loop: Header=BB1_280 Depth=1
	s_clause 0x2
	global_load_dwordx2 v[2:3], v7, s[6:7] offset:40
	global_load_dwordx2 v[14:15], v7, s[6:7] offset:24 glc dlc
	global_load_dwordx2 v[10:11], v7, s[6:7]
	s_waitcnt vmcnt(2)
	v_readfirstlane_b32 s18, v2
	v_readfirstlane_b32 s19, v3
	s_add_u32 s13, s18, 1
	s_addc_u32 s17, s19, 0
	s_add_u32 s4, s13, s10
	s_addc_u32 s5, s17, s11
	s_cmp_eq_u64 s[4:5], 0
	s_cselect_b32 s5, s17, s5
	s_cselect_b32 s4, s13, s4
	v_mov_b32_e32 v13, s5
	s_and_b64 s[10:11], s[4:5], s[18:19]
	v_mov_b32_e32 v12, s4
	s_mul_i32 s11, s11, 24
	s_mul_hi_u32 s13, s10, 24
	s_mul_i32 s10, s10, 24
	s_add_i32 s13, s13, s11
	s_waitcnt vmcnt(0)
	v_add_co_u32 v2, vcc_lo, v10, s10
	v_add_co_ci_u32_e64 v3, null, s13, v11, vcc_lo
	global_store_dwordx2 v[2:3], v[14:15], off
	s_waitcnt_vscnt null, 0x0
	global_atomic_cmpswap_x2 v[12:13], v7, v[12:15], s[6:7] offset:24 glc
	s_waitcnt vmcnt(0)
	v_cmp_ne_u64_e32 vcc_lo, v[12:13], v[14:15]
	s_and_b32 exec_lo, exec_lo, vcc_lo
	s_cbranch_execz .LBB1_279
; %bb.360:                              ;   in Loop: Header=BB1_280 Depth=1
	s_mov_b32 s10, 0
.LBB1_361:                              ;   Parent Loop BB1_280 Depth=1
                                        ; =>  This Inner Loop Header: Depth=2
	v_mov_b32_e32 v10, s4
	v_mov_b32_e32 v11, s5
	s_sleep 1
	global_store_dwordx2 v[2:3], v[12:13], off
	s_waitcnt_vscnt null, 0x0
	global_atomic_cmpswap_x2 v[10:11], v7, v[10:13], s[6:7] offset:24 glc
	s_waitcnt vmcnt(0)
	v_cmp_eq_u64_e32 vcc_lo, v[10:11], v[12:13]
	v_mov_b32_e32 v13, v11
	v_mov_b32_e32 v12, v10
	s_or_b32 s10, vcc_lo, s10
	s_andn2_b32 exec_lo, exec_lo, s10
	s_cbranch_execnz .LBB1_361
	s_branch .LBB1_279
.LBB1_362:
	s_or_b32 exec_lo, exec_lo, s15
                                        ; implicit-def: $vgpr33
                                        ; implicit-def: $vgpr32
.LBB1_363:
	s_andn2_saveexec_b32 s14, s14
	s_cbranch_execz .LBB1_391
; %bb.364:
	v_readfirstlane_b32 s4, v32
	v_mov_b32_e32 v8, 0
	v_mov_b32_e32 v9, 0
	v_cmp_eq_u32_e64 s4, s4, v32
	s_and_saveexec_b32 s5, s4
	s_cbranch_execz .LBB1_370
; %bb.365:
	v_mov_b32_e32 v2, 0
	s_mov_b32 s10, exec_lo
	global_load_dwordx2 v[5:6], v2, s[6:7] offset:24 glc dlc
	s_waitcnt vmcnt(0)
	buffer_gl1_inv
	buffer_gl0_inv
	s_clause 0x1
	global_load_dwordx2 v[3:4], v2, s[6:7] offset:40
	global_load_dwordx2 v[7:8], v2, s[6:7]
	s_waitcnt vmcnt(1)
	v_and_b32_e32 v4, v4, v6
	v_and_b32_e32 v3, v3, v5
	v_mul_lo_u32 v4, v4, 24
	v_mul_hi_u32 v9, v3, 24
	v_mul_lo_u32 v3, v3, 24
	v_add_nc_u32_e32 v4, v9, v4
	s_waitcnt vmcnt(0)
	v_add_co_u32 v3, vcc_lo, v7, v3
	v_add_co_ci_u32_e64 v4, null, v8, v4, vcc_lo
	global_load_dwordx2 v[3:4], v[3:4], off glc dlc
	s_waitcnt vmcnt(0)
	global_atomic_cmpswap_x2 v[8:9], v2, v[3:6], s[6:7] offset:24 glc
	s_waitcnt vmcnt(0)
	buffer_gl1_inv
	buffer_gl0_inv
	v_cmpx_ne_u64_e64 v[8:9], v[5:6]
	s_cbranch_execz .LBB1_369
; %bb.366:
	s_mov_b32 s11, 0
	.p2align	6
.LBB1_367:                              ; =>This Inner Loop Header: Depth=1
	s_sleep 1
	s_clause 0x1
	global_load_dwordx2 v[3:4], v2, s[6:7] offset:40
	global_load_dwordx2 v[10:11], v2, s[6:7]
	v_mov_b32_e32 v5, v8
	v_mov_b32_e32 v6, v9
	s_waitcnt vmcnt(1)
	v_and_b32_e32 v3, v3, v5
	v_and_b32_e32 v4, v4, v6
	s_waitcnt vmcnt(0)
	v_mad_u64_u32 v[7:8], null, v3, 24, v[10:11]
	v_mov_b32_e32 v3, v8
	v_mad_u64_u32 v[3:4], null, v4, 24, v[3:4]
	v_mov_b32_e32 v8, v3
	global_load_dwordx2 v[3:4], v[7:8], off glc dlc
	s_waitcnt vmcnt(0)
	global_atomic_cmpswap_x2 v[8:9], v2, v[3:6], s[6:7] offset:24 glc
	s_waitcnt vmcnt(0)
	buffer_gl1_inv
	buffer_gl0_inv
	v_cmp_eq_u64_e32 vcc_lo, v[8:9], v[5:6]
	s_or_b32 s11, vcc_lo, s11
	s_andn2_b32 exec_lo, exec_lo, s11
	s_cbranch_execnz .LBB1_367
; %bb.368:
	s_or_b32 exec_lo, exec_lo, s11
.LBB1_369:
	s_or_b32 exec_lo, exec_lo, s10
.LBB1_370:
	s_or_b32 exec_lo, exec_lo, s5
	v_mov_b32_e32 v2, 0
	v_readfirstlane_b32 s11, v9
	v_readfirstlane_b32 s10, v8
	s_mov_b32 s5, exec_lo
	s_clause 0x1
	global_load_dwordx2 v[10:11], v2, s[6:7] offset:40
	global_load_dwordx4 v[4:7], v2, s[6:7]
	s_waitcnt vmcnt(1)
	v_readfirstlane_b32 s12, v10
	v_readfirstlane_b32 s13, v11
	s_and_b64 s[12:13], s[12:13], s[10:11]
	s_mul_i32 s15, s13, 24
	s_mul_hi_u32 s16, s12, 24
	s_mul_i32 s17, s12, 24
	s_add_i32 s16, s16, s15
	s_waitcnt vmcnt(0)
	v_add_co_u32 v8, vcc_lo, v4, s17
	v_add_co_ci_u32_e64 v9, null, s16, v5, vcc_lo
	s_and_saveexec_b32 s15, s4
	s_cbranch_execz .LBB1_372
; %bb.371:
	v_mov_b32_e32 v10, s5
	v_mov_b32_e32 v11, v2
	;; [unrolled: 1-line block ×4, first 2 shown]
	global_store_dwordx4 v[8:9], v[10:13], off offset:8
.LBB1_372:
	s_or_b32 exec_lo, exec_lo, s15
	s_lshl_b64 s[12:13], s[12:13], 12
	s_mov_b32 s16, 0
	v_add_co_u32 v6, vcc_lo, v6, s12
	v_add_co_ci_u32_e64 v7, null, s13, v7, vcc_lo
	s_mov_b32 s17, s16
	v_readfirstlane_b32 s12, v6
	v_add_co_u32 v6, vcc_lo, v6, v33
	s_mov_b32 s18, s16
	s_mov_b32 s19, s16
	v_and_or_b32 v0, 0xffffff1f, v0, 32
	v_mov_b32_e32 v3, v2
	v_readfirstlane_b32 s13, v7
	v_mov_b32_e32 v10, s16
	v_add_co_ci_u32_e64 v7, null, 0, v7, vcc_lo
	v_mov_b32_e32 v11, s17
	v_mov_b32_e32 v12, s18
	;; [unrolled: 1-line block ×3, first 2 shown]
	global_store_dwordx4 v33, v[0:3], s[12:13]
	global_store_dwordx4 v33, v[10:13], s[12:13] offset:16
	global_store_dwordx4 v33, v[10:13], s[12:13] offset:32
	;; [unrolled: 1-line block ×3, first 2 shown]
	s_and_saveexec_b32 s5, s4
	s_cbranch_execz .LBB1_380
; %bb.373:
	v_mov_b32_e32 v10, 0
	v_mov_b32_e32 v11, s10
	;; [unrolled: 1-line block ×3, first 2 shown]
	s_clause 0x1
	global_load_dwordx2 v[13:14], v10, s[6:7] offset:32 glc dlc
	global_load_dwordx2 v[0:1], v10, s[6:7] offset:40
	s_waitcnt vmcnt(0)
	v_readfirstlane_b32 s12, v0
	v_readfirstlane_b32 s13, v1
	s_and_b64 s[12:13], s[12:13], s[10:11]
	s_mul_i32 s13, s13, 24
	s_mul_hi_u32 s15, s12, 24
	s_mul_i32 s12, s12, 24
	s_add_i32 s15, s15, s13
	v_add_co_u32 v4, vcc_lo, v4, s12
	v_add_co_ci_u32_e64 v5, null, s15, v5, vcc_lo
	s_mov_b32 s12, exec_lo
	global_store_dwordx2 v[4:5], v[13:14], off
	s_waitcnt_vscnt null, 0x0
	global_atomic_cmpswap_x2 v[2:3], v10, v[11:14], s[6:7] offset:32 glc
	s_waitcnt vmcnt(0)
	v_cmpx_ne_u64_e64 v[2:3], v[13:14]
	s_cbranch_execz .LBB1_376
; %bb.374:
	s_mov_b32 s13, 0
.LBB1_375:                              ; =>This Inner Loop Header: Depth=1
	v_mov_b32_e32 v0, s10
	v_mov_b32_e32 v1, s11
	s_sleep 1
	global_store_dwordx2 v[4:5], v[2:3], off
	s_waitcnt_vscnt null, 0x0
	global_atomic_cmpswap_x2 v[0:1], v10, v[0:3], s[6:7] offset:32 glc
	s_waitcnt vmcnt(0)
	v_cmp_eq_u64_e32 vcc_lo, v[0:1], v[2:3]
	v_mov_b32_e32 v3, v1
	v_mov_b32_e32 v2, v0
	s_or_b32 s13, vcc_lo, s13
	s_andn2_b32 exec_lo, exec_lo, s13
	s_cbranch_execnz .LBB1_375
.LBB1_376:
	s_or_b32 exec_lo, exec_lo, s12
	v_mov_b32_e32 v3, 0
	s_mov_b32 s13, exec_lo
	s_mov_b32 s12, exec_lo
	v_mbcnt_lo_u32_b32 v2, s13, 0
	global_load_dwordx2 v[0:1], v3, s[6:7] offset:16
	v_cmpx_eq_u32_e32 0, v2
	s_cbranch_execz .LBB1_378
; %bb.377:
	s_bcnt1_i32_b32 s13, s13
	v_mov_b32_e32 v2, s13
	s_waitcnt vmcnt(0)
	global_atomic_add_x2 v[0:1], v[2:3], off offset:8
.LBB1_378:
	s_or_b32 exec_lo, exec_lo, s12
	s_waitcnt vmcnt(0)
	global_load_dwordx2 v[2:3], v[0:1], off offset:16
	s_waitcnt vmcnt(0)
	v_cmp_eq_u64_e32 vcc_lo, 0, v[2:3]
	s_cbranch_vccnz .LBB1_380
; %bb.379:
	global_load_dword v0, v[0:1], off offset:24
	v_mov_b32_e32 v1, 0
	s_waitcnt vmcnt(0)
	v_readfirstlane_b32 s12, v0
	s_waitcnt_vscnt null, 0x0
	global_store_dwordx2 v[2:3], v[0:1], off
	s_and_b32 m0, s12, 0x7fffff
	s_sendmsg sendmsg(MSG_INTERRUPT)
.LBB1_380:
	s_or_b32 exec_lo, exec_lo, s5
	s_branch .LBB1_384
	.p2align	6
.LBB1_381:                              ;   in Loop: Header=BB1_384 Depth=1
	s_or_b32 exec_lo, exec_lo, s5
	v_readfirstlane_b32 s5, v0
	s_cmp_eq_u32 s5, 0
	s_cbranch_scc1 .LBB1_383
; %bb.382:                              ;   in Loop: Header=BB1_384 Depth=1
	s_sleep 1
	s_cbranch_execnz .LBB1_384
	s_branch .LBB1_386
	.p2align	6
.LBB1_383:
	s_branch .LBB1_386
.LBB1_384:                              ; =>This Inner Loop Header: Depth=1
	v_mov_b32_e32 v0, 1
	s_and_saveexec_b32 s5, s4
	s_cbranch_execz .LBB1_381
; %bb.385:                              ;   in Loop: Header=BB1_384 Depth=1
	global_load_dword v0, v[8:9], off offset:20 glc dlc
	s_waitcnt vmcnt(0)
	buffer_gl1_inv
	buffer_gl0_inv
	v_and_b32_e32 v0, 1, v0
	s_branch .LBB1_381
.LBB1_386:
	global_load_dwordx2 v[0:1], v[6:7], off
	s_and_saveexec_b32 s12, s4
	s_cbranch_execz .LBB1_390
; %bb.387:
	v_mov_b32_e32 v8, 0
	s_clause 0x2
	global_load_dwordx2 v[2:3], v8, s[6:7] offset:40
	global_load_dwordx2 v[11:12], v8, s[6:7] offset:24 glc dlc
	global_load_dwordx2 v[4:5], v8, s[6:7]
	s_waitcnt vmcnt(2)
	v_readfirstlane_b32 s16, v2
	v_readfirstlane_b32 s17, v3
	s_add_u32 s13, s16, 1
	s_addc_u32 s15, s17, 0
	s_add_u32 s4, s13, s10
	s_addc_u32 s5, s15, s11
	s_cmp_eq_u64 s[4:5], 0
	s_cselect_b32 s5, s15, s5
	s_cselect_b32 s4, s13, s4
	v_mov_b32_e32 v10, s5
	s_and_b64 s[10:11], s[4:5], s[16:17]
	v_mov_b32_e32 v9, s4
	s_mul_i32 s11, s11, 24
	s_mul_hi_u32 s13, s10, 24
	s_mul_i32 s10, s10, 24
	s_add_i32 s13, s13, s11
	s_waitcnt vmcnt(0)
	v_add_co_u32 v6, vcc_lo, v4, s10
	v_add_co_ci_u32_e64 v7, null, s13, v5, vcc_lo
	global_store_dwordx2 v[6:7], v[11:12], off
	s_waitcnt_vscnt null, 0x0
	global_atomic_cmpswap_x2 v[4:5], v8, v[9:12], s[6:7] offset:24 glc
	s_waitcnt vmcnt(0)
	v_cmp_ne_u64_e32 vcc_lo, v[4:5], v[11:12]
	s_and_b32 exec_lo, exec_lo, vcc_lo
	s_cbranch_execz .LBB1_390
; %bb.388:
	s_mov_b32 s10, 0
.LBB1_389:                              ; =>This Inner Loop Header: Depth=1
	v_mov_b32_e32 v2, s4
	v_mov_b32_e32 v3, s5
	s_sleep 1
	global_store_dwordx2 v[6:7], v[4:5], off
	s_waitcnt_vscnt null, 0x0
	global_atomic_cmpswap_x2 v[2:3], v8, v[2:5], s[6:7] offset:24 glc
	s_waitcnt vmcnt(0)
	v_cmp_eq_u64_e32 vcc_lo, v[2:3], v[4:5]
	v_mov_b32_e32 v5, v3
	v_mov_b32_e32 v4, v2
	s_or_b32 s10, vcc_lo, s10
	s_andn2_b32 exec_lo, exec_lo, s10
	s_cbranch_execnz .LBB1_389
.LBB1_390:
	s_or_b32 exec_lo, exec_lo, s12
.LBB1_391:
	s_or_b32 exec_lo, exec_lo, s14
	s_getpc_b64 s[4:5]
	s_add_u32 s4, s4, .str.3@rel32@lo+4
	s_addc_u32 s5, s5, .str.3@rel32@hi+12
	s_getpc_b64 s[6:7]
	s_add_u32 s6, s6, .str.3@rel32@lo+32
	s_addc_u32 s7, s7, .str.3@rel32@hi+40
	s_sub_i32 s10, s6, s4
	s_getpc_b64 s[6:7]
	s_add_u32 s6, s6, __ockl_fprintf_append_string_n@rel32@lo+4
	s_addc_u32 s7, s7, __ockl_fprintf_append_string_n@rel32@hi+12
	s_ashr_i32 s11, s10, 31
	v_mov_b32_e32 v2, s4
	v_mov_b32_e32 v3, s5
	;; [unrolled: 1-line block ×5, first 2 shown]
	s_swappc_b64 s[30:31], s[6:7]
	s_trap 2
.Lfunc_end1:
	.size	__assert_fail, .Lfunc_end1-__assert_fail
                                        ; -- End function
	.set .L__assert_fail.num_vgpr, max(40, .L__ockl_fprintf_append_string_n.num_vgpr)
	.set .L__assert_fail.num_agpr, max(0, .L__ockl_fprintf_append_string_n.num_agpr)
	.set .L__assert_fail.numbered_sgpr, max(34, .L__ockl_fprintf_append_string_n.numbered_sgpr)
	.set .L__assert_fail.num_named_barrier, max(0, .L__ockl_fprintf_append_string_n.num_named_barrier)
	.set .L__assert_fail.private_seg_size, 64+max(.L__ockl_fprintf_append_string_n.private_seg_size)
	.set .L__assert_fail.uses_vcc, or(1, .L__ockl_fprintf_append_string_n.uses_vcc)
	.set .L__assert_fail.uses_flat_scratch, or(0, .L__ockl_fprintf_append_string_n.uses_flat_scratch)
	.set .L__assert_fail.has_dyn_sized_stack, or(0, .L__ockl_fprintf_append_string_n.has_dyn_sized_stack)
	.set .L__assert_fail.has_recursion, or(0, .L__ockl_fprintf_append_string_n.has_recursion)
	.set .L__assert_fail.has_indirect_call, or(0, .L__ockl_fprintf_append_string_n.has_indirect_call)
	.section	.AMDGPU.csdata,"",@progbits
; Function info:
; codeLenInByte = 15432
; TotalNumSgprs: 36
; NumVgprs: 40
; ScratchSize: 64
; MemoryBound: 0
	.text
	.p2align	2                               ; -- Begin function _ZN12_GLOBAL__N_17runRingIh8FuncProdIhE11ProtoSimpleILi2ELi2ELi0ELi1ELi0ELi0EELi0ELi0ELi1ELi0EEEviiP15ncclDevWorkColl
	.type	_ZN12_GLOBAL__N_17runRingIh8FuncProdIhE11ProtoSimpleILi2ELi2ELi0ELi1ELi0ELi0EELi0ELi0ELi1ELi0EEEviiP15ncclDevWorkColl,@function
_ZN12_GLOBAL__N_17runRingIh8FuncProdIhE11ProtoSimpleILi2ELi2ELi0ELi1ELi0ELi0EELi0ELi0ELi1ELi0EEEviiP15ncclDevWorkColl: ; @_ZN12_GLOBAL__N_17runRingIh8FuncProdIhE11ProtoSimpleILi2ELi2ELi0ELi1ELi0ELi0EELi0ELi0ELi1ELi0EEEviiP15ncclDevWorkColl
; %bb.0:
	s_waitcnt vmcnt(0) expcnt(0) lgkmcnt(0)
	s_mov_b32 s88, s33
	s_mov_b32 s33, s32
	s_or_saveexec_b32 s4, -1
	buffer_store_dword v107, off, s[0:3], s33 offset:140 ; 4-byte Folded Spill
	s_mov_b32 exec_lo, s4
	s_addk_i32 s32, 0x1400
	buffer_store_dword v40, off, s[0:3], s33 offset:136 ; 4-byte Folded Spill
	buffer_store_dword v41, off, s[0:3], s33 offset:132 ; 4-byte Folded Spill
	;; [unrolled: 1-line block ×34, first 2 shown]
	buffer_store_dword v106, off, s[0:3], s33 ; 4-byte Folded Spill
	v_writelane_b32 v107, s30, 0
	v_writelane_b32 v107, s31, 1
	s_trap 2
	flat_load_dword v9, v[2:3]
	ds_read_b32 v6, v0
                                        ; implicit-def: $vgpr28_vgpr29
                                        ; implicit-def: $vgpr14_vgpr15
                                        ; implicit-def: $vgpr4_vgpr5
	s_waitcnt lgkmcnt(0)
	v_readfirstlane_b32 s25, v6
	s_waitcnt vmcnt(0)
	v_cmp_ne_u32_sdwa s4, v6, v9 src0_sel:DWORD src1_sel:BYTE_0
	s_and_saveexec_b32 s5, s4
	s_xor_b32 s4, exec_lo, s5
	s_cbranch_execz .LBB2_6
; %bb.1:
	v_not_b32_sdwa v8, v9 dst_sel:DWORD dst_unused:UNUSED_PAD src0_sel:BYTE_0
	v_cmp_ne_u32_sdwa s5, v6, v9 src0_sel:DWORD src1_sel:BYTE_1
                                        ; implicit-def: $vgpr28_vgpr29
                                        ; implicit-def: $vgpr14_vgpr15
                                        ; implicit-def: $vgpr4_vgpr5
	s_and_saveexec_b32 s6, s5
	s_xor_b32 s5, exec_lo, s6
	s_cbranch_execz .LBB2_3
; %bb.2:
	s_clause 0x1
	flat_load_dwordx4 v[9:12], v[2:3] offset:72
	flat_load_dwordx2 v[4:5], v[2:3] offset:96
	v_add_nc_u32_e32 v6, v6, v8
                                        ; implicit-def: $vgpr8
	v_ashrrev_i32_e32 v7, 31, v6
	s_waitcnt vmcnt(1) lgkmcnt(1)
	v_mul_lo_u32 v7, v11, v7
	v_mad_u64_u32 v[14:15], null, v11, v6, v[9:10]
	v_mul_lo_u32 v6, v12, v6
	s_waitcnt vmcnt(0) lgkmcnt(0)
	v_lshrrev_b64 v[28:29], 12, v[4:5]
	v_mov_b32_e32 v4, v11
	v_mov_b32_e32 v5, v12
                                        ; implicit-def: $vgpr9
	v_add3_u32 v15, v6, v15, v7
.LBB2_3:
	s_andn2_saveexec_b32 s5, s5
	s_cbranch_execz .LBB2_5
; %bb.4:
	s_clause 0x1
	flat_load_dwordx4 v[10:13], v[2:3] offset:72
	flat_load_dwordx4 v[4:7], v[2:3] offset:88
	s_waitcnt vmcnt(0) lgkmcnt(0)
	v_add_nc_u32_sdwa v6, v9, v8 dst_sel:DWORD dst_unused:UNUSED_PAD src0_sel:BYTE_1 src1_sel:DWORD
	v_ashrrev_i32_e32 v8, 31, v6
	v_mul_lo_u32 v8, v12, v8
	v_mad_u64_u32 v[14:15], null, v12, v6, v[10:11]
	v_mul_lo_u32 v6, v13, v6
	v_lshrrev_b32_e32 v28, 1, v7
	v_add3_u32 v15, v6, v15, v8
.LBB2_5:
	s_or_b32 exec_lo, exec_lo, s5
.LBB2_6:
	s_andn2_saveexec_b32 s4, s4
	s_cbranch_execz .LBB2_8
; %bb.7:
	s_clause 0x1
	flat_load_dwordx2 v[6:7], v[2:3] offset:96
	flat_load_dwordx2 v[4:5], v[2:3] offset:72
	v_mov_b32_e32 v14, 0
	v_mov_b32_e32 v15, 0
	s_waitcnt vmcnt(1) lgkmcnt(1)
	v_lshlrev_b64 v[28:29], 9, v[6:7]
.LBB2_8:
	s_or_b32 exec_lo, exec_lo, s4
	s_trap 2
	ds_read_b64 v[6:7], v0
	s_mov_b32 s5, exec_lo
	s_waitcnt lgkmcnt(0)
	v_cmp_ne_u32_e32 vcc_lo, -1, v6
	v_cndmask_b32_e64 v35, 0, 1, vcc_lo
	v_cmp_ne_u32_e32 vcc_lo, -1, v7
	v_add_co_ci_u32_e64 v8, null, 0, v35, vcc_lo
	v_lshlrev_b32_e32 v6, 1, v8
	v_cmpx_le_u32_e64 v6, v1
	s_xor_b32 s24, exec_lo, s5
	s_cbranch_execz .LBB2_1258
; %bb.9:
	s_clause 0x3
	flat_load_dwordx4 v[10:13], v[2:3] offset:16
	flat_load_dwordx2 v[29:30], v[2:3] offset:104
	flat_load_ushort v7, v[2:3] offset:8
	flat_load_dword v6, v[2:3] offset:4
	s_trap 2
	s_load_dword s4, s[8:9], 0x0
	v_mov_b32_e32 v9, 0
	v_mov_b32_e32 v71, 4
	s_waitcnt lgkmcnt(0)
	s_cmp_lt_u32 s12, s4
	s_cselect_b32 s4, 12, 18
	s_add_u32 s4, s8, s4
	s_addc_u32 s5, s9, 0
	global_load_ushort v70, v9, s[4:5]
	ds_read_b32 v9, v0
	s_mov_b32 s5, exec_lo
	s_waitcnt lgkmcnt(0)
	v_readfirstlane_b32 s12, v9
	v_cmpx_ge_i32_e64 v0, v35
	s_cbranch_execz .LBB2_19
; %bb.10:
	v_cmp_ge_u32_e64 s4, v0, v8
                                        ; implicit-def: $vgpr71
	s_and_saveexec_b32 s6, s4
	s_xor_b32 s4, exec_lo, s6
	s_cbranch_execz .LBB2_16
; %bb.11:
	v_cndmask_b32_e64 v9, 0, 1, vcc_lo
	s_mov_b32 s6, exec_lo
	v_sub_nc_u32_e32 v9, v1, v9
	v_cmpx_ge_u32_e64 v0, v9
	s_xor_b32 s6, exec_lo, s6
; %bb.12:
                                        ; implicit-def: $vgpr8
; %bb.13:
	s_or_saveexec_b32 s6, s6
	v_mov_b32_e32 v71, 16
	s_xor_b32 exec_lo, exec_lo, s6
; %bb.14:
	v_sub_nc_u32_e32 v8, v1, v8
	v_cmp_lt_i32_e32 vcc_lo, v0, v8
	v_cndmask_b32_e64 v71, 32, 0, vcc_lo
; %bb.15:
	s_or_b32 exec_lo, exec_lo, s6
.LBB2_16:
	s_andn2_saveexec_b32 s4, s4
; %bb.17:
	v_mov_b32_e32 v71, 8
; %bb.18:
	s_or_b32 exec_lo, exec_lo, s4
.LBB2_19:
	s_or_b32 exec_lo, exec_lo, s5
	v_and_b32_e32 v8, 36, v71
	v_cmp_ne_u32_e32 vcc_lo, 0, v8
	v_mov_b32_e32 v8, -1
	s_and_saveexec_b32 s4, vcc_lo
	s_cbranch_execz .LBB2_21
; %bb.20:
	s_trap 2
	ds_read_b32 v8, v0
.LBB2_21:
	s_or_b32 exec_lo, exec_lo, s4
	v_and_b32_e32 v9, 24, v71
	s_mov_b32 s5, exec_lo
	v_cmpx_ne_u32_e32 0, v9
	s_cbranch_execz .LBB2_23
; %bb.22:
	s_trap 2
	s_waitcnt lgkmcnt(0)
	ds_read_b32 v8, v0
.LBB2_23:
	s_or_b32 exec_lo, exec_lo, s5
	s_waitcnt vmcnt(1)
	v_lshrrev_b64 v[6:7], 31, v[6:7]
	v_mov_b32_e32 v18, 0
	v_mov_b32_e32 v19, 0
	s_waitcnt lgkmcnt(0)
	v_ashrrev_i32_e32 v9, 31, v8
                                        ; implicit-def: $vgpr80
                                        ; implicit-def: $vgpr38_vgpr39
                                        ; implicit-def: $vgpr22_vgpr23
                                        ; implicit-def: $vgpr26_vgpr27
                                        ; implicit-def: $vgpr20_vgpr21
	v_and_b32_e32 v16, 3, v6
	v_mov_b32_e32 v6, 0
	v_mov_b32_e32 v7, 0
	v_and_b32_e32 v32, 0xffff, v16
                                        ; implicit-def: $vgpr16_vgpr17
	s_and_saveexec_b32 s4, vcc_lo
	s_cbranch_execz .LBB2_33
; %bb.24:
	s_trap 2
	ds_read_b64 v[6:7], v0
	v_lshlrev_b64 v[16:17], 3, v[8:9]
	s_mov_b32 s5, exec_lo
	s_waitcnt lgkmcnt(0)
	v_add_co_u32 v6, vcc_lo, v6, v16
	v_add_co_ci_u32_e64 v7, null, v7, v17, vcc_lo
                                        ; implicit-def: $vgpr16_vgpr17
	flat_load_dwordx2 v[6:7], v[6:7]
	s_waitcnt vmcnt(0) lgkmcnt(0)
	v_mad_u64_u32 v[24:25], null, 0xa8, v32, v[6:7]
	flat_load_dword v6, v[24:25] offset:640
	s_waitcnt vmcnt(0) lgkmcnt(0)
	v_cmpx_eq_u32_e32 1, v6
	s_cbranch_execz .LBB2_26
; %bb.25:
	flat_load_dwordx2 v[16:17], v[24:25] offset:648
	v_or_b32_e32 v71, 0x2000, v71
	s_waitcnt vmcnt(0) lgkmcnt(0)
	flat_load_dwordx2 v[6:7], v[16:17]
	s_trap 2
	s_waitcnt vmcnt(0) lgkmcnt(0)
	ds_write_b64 v0, v[6:7]
	flat_load_dwordx2 v[6:7], v[16:17] offset:8
	s_waitcnt vmcnt(0) lgkmcnt(0)
	ds_write_b64 v0, v[6:7]
	flat_load_dwordx2 v[6:7], v[16:17] offset:16
	s_waitcnt vmcnt(0) lgkmcnt(0)
	ds_write_b64 v0, v[6:7]
.LBB2_26:
	s_or_b32 exec_lo, exec_lo, s5
	flat_load_dwordx2 v[6:7], v[24:25] offset:608
	v_and_b32_e32 v18, 32, v71
	s_mov_b32 s5, exec_lo
                                        ; implicit-def: $vgpr20_vgpr21
	s_waitcnt vmcnt(0) lgkmcnt(0)
	v_add_co_u32 v6, vcc_lo, v6, 3
	v_add_co_ci_u32_e64 v39, null, 0, v7, vcc_lo
	v_and_b32_e32 v38, -4, v6
	v_cmpx_ne_u32_e32 0, v18
	s_cbranch_execz .LBB2_28
; %bb.27:
	flat_load_dwordx2 v[20:21], v[24:25] offset:560
	s_waitcnt vmcnt(0) lgkmcnt(0)
	s_waitcnt_vscnt null, 0x0
	flat_store_dwordx2 v[20:21], v[38:39]
.LBB2_28:
	s_or_b32 exec_lo, exec_lo, s5
	v_and_b32_e32 v22, 4, v71
	v_add_co_u32 v18, vcc_lo, 0x1f8, v24
	v_mov_b32_e32 v6, 0
	v_add_co_ci_u32_e64 v19, null, 0, v25, vcc_lo
	v_mov_b32_e32 v7, 0
	v_cmp_ne_u32_e32 vcc_lo, 0, v22
                                        ; implicit-def: $vgpr80
                                        ; implicit-def: $vgpr22_vgpr23
                                        ; implicit-def: $vgpr26_vgpr27
	s_and_saveexec_b32 s5, vcc_lo
	s_cbranch_execz .LBB2_32
; %bb.29:
	v_and_b32_e32 v6, 0x800, v71
	s_mov_b32 s6, exec_lo
	v_cmpx_eq_u32_e32 0, v6
	s_cbranch_execz .LBB2_31
; %bb.30:
	s_trap 2
	ds_write_b64 v0, v[18:19]
.LBB2_31:
	s_or_b32 exec_lo, exec_lo, s6
	flat_load_dwordx2 v[20:21], v[24:25] offset:552
	s_waitcnt vmcnt(0) lgkmcnt(0)
	flat_load_dwordx2 v[26:27], v[20:21] glc dlc
	s_clause 0x2
	flat_load_dwordx2 v[6:7], v[24:25] offset:600
	flat_load_dword v80, v[24:25] offset:576
	flat_load_dwordx2 v[22:23], v[24:25] offset:520
	v_or_b32_e32 v24, 0x100, v71
	s_waitcnt vmcnt(2) lgkmcnt(2)
	v_cmp_eq_u64_e32 vcc_lo, 0, v[6:7]
	v_cndmask_b32_e32 v71, v24, v71, vcc_lo
.LBB2_32:
	s_or_b32 exec_lo, exec_lo, s5
.LBB2_33:
	s_or_b32 exec_lo, exec_lo, s4
	v_and_b32_e32 v24, 24, v71
	v_cmp_ne_u32_e32 vcc_lo, 0, v24
                                        ; implicit-def: $vgpr24_vgpr25
	s_and_saveexec_b32 s4, vcc_lo
	s_cbranch_execz .LBB2_41
; %bb.34:
	s_trap 2
	ds_read_b64 v[6:7], v0
	v_lshlrev_b64 v[8:9], 3, v[8:9]
	v_or_b32_e32 v24, 0x100, v71
	s_waitcnt lgkmcnt(0)
	v_add_co_u32 v6, vcc_lo, v6, v8
	v_add_co_ci_u32_e64 v7, null, v7, v9, vcc_lo
	flat_load_dwordx2 v[6:7], v[6:7]
	s_waitcnt vmcnt(0) lgkmcnt(0)
	v_mad_u64_u32 v[18:19], null, 0xa8, v32, v[6:7]
	flat_load_dwordx4 v[6:9], v[18:19] offset:96
	s_waitcnt vmcnt(0) lgkmcnt(0)
	v_cmp_eq_u64_e32 vcc_lo, 0, v[6:7]
	v_cndmask_b32_e32 v71, v24, v71, vcc_lo
	v_and_b32_e32 v24, 16, v71
	v_cmp_ne_u32_e32 vcc_lo, 0, v24
                                        ; implicit-def: $vgpr24_vgpr25
	s_and_saveexec_b32 s5, vcc_lo
	s_cbranch_execz .LBB2_36
; %bb.35:
	s_clause 0x2
	flat_load_dwordx2 v[20:21], v[18:19] offset:48
	flat_load_dwordx2 v[24:25], v[18:19] offset:120
	;; [unrolled: 1-line block ×3, first 2 shown]
.LBB2_36:
	s_or_b32 exec_lo, exec_lo, s5
	v_add_co_u32 v8, vcc_lo, v8, 3
	v_and_b32_e32 v32, 8, v71
	v_add_co_ci_u32_e64 v39, null, 0, v9, vcc_lo
	v_and_b32_e32 v38, -4, v8
	s_mov_b32 s5, exec_lo
	v_cmpx_ne_u32_e32 0, v32
	s_cbranch_execz .LBB2_40
; %bb.37:
	v_and_b32_e32 v8, 0x800, v71
	s_mov_b32 s6, exec_lo
	v_cmpx_eq_u32_e32 0, v8
	s_cbranch_execz .LBB2_39
; %bb.38:
	s_trap 2
	ds_write_b64 v0, v[18:19]
.LBB2_39:
	s_or_b32 exec_lo, exec_lo, s6
	s_waitcnt vmcnt(2) lgkmcnt(2)
	flat_load_dwordx2 v[20:21], v[18:19] offset:56
	s_waitcnt vmcnt(0) lgkmcnt(0)
	flat_load_dwordx2 v[26:27], v[20:21] glc dlc
	s_clause 0x1
	flat_load_dword v80, v[18:19] offset:72
	flat_load_dwordx2 v[22:23], v[18:19] offset:16
.LBB2_40:
	s_or_b32 exec_lo, exec_lo, s5
.LBB2_41:
	s_or_b32 exec_lo, exec_lo, s4
	v_cmp_eq_u32_e64 s4, 0, v0
	s_and_saveexec_b32 s5, s4
	s_cbranch_execz .LBB2_43
; %bb.42:
	flat_load_dwordx2 v[8:9], v[2:3] offset:32
	ds_write2_b64 v0, v[12:13], v[10:11] offset1:1
	s_trap 2
	s_waitcnt vmcnt(0) lgkmcnt(1)
	ds_write_b64 v0, v[8:9]
	ds_write_b64 v0, v[29:30]
.LBB2_43:
	s_or_b32 exec_lo, exec_lo, s5
	v_mov_b32_e32 v12, 0
	v_mov_b32_e32 v13, 0
	s_mov_b32 s26, exec_lo
	v_cmpx_lt_i64_e32 0, v[4:5]
	s_cbranch_execz .LBB2_1224
; %bb.44:
	flat_load_dword v3, v[2:3] offset:4
	s_ashr_i32 s28, s25, 31
	v_and_b32_e32 v8, 31, v31
	v_ashrrev_i32_e32 v9, 31, v0
	v_lshrrev_b32_e32 v81, 5, v1
	s_add_u32 s40, s25, -1
	s_addc_u32 s41, s28, -1
	s_add_i32 s42, s25, s25
	s_not_b32 s11, s25
	s_cmp_gt_i32 s25, 0
	v_and_b32_e32 v82, 0x1fe0, v1
	s_cselect_b32 s13, s11, -1
	v_cmp_eq_u32_e64 s11, 0, v8
	v_lshrrev_b32_e32 v8, 27, v9
	v_lshlrev_b32_e32 v97, 9, v81
	v_subrev_nc_u32_e32 v100, 32, v82
	s_ashr_i32 s14, s12, 31
	s_add_i32 s43, s13, s42
	v_add_nc_u32_e32 v8, v0, v8
	v_add_nc_u32_e32 v101, 0xfffffe00, v97
	s_lshr_b32 s13, s14, 25
	v_ashrrev_i32_e32 v102, 31, v100
	s_add_i32 s12, s12, s13
	v_ashrrev_i32_e32 v103, 5, v8
	v_and_b32_e32 v8, 0xffffffe0, v8
	v_ashrrev_i32_e32 v112, 31, v101
	s_ashr_i32 s45, s12, 7
	v_add_co_u32 v113, s12, v100, 32
	v_add_co_ci_u32_e64 v114, null, 0, v102, s12
	v_add_co_u32 v117, s12, 0x200, v101
	v_sub_nc_u32_e32 v115, v0, v8
	v_lshlrev_b32_e32 v8, 10, v103
	v_add_co_ci_u32_e64 v118, null, 0, v112, s12
	v_and_b32_e32 v36, 0x3ffffe00, v28
	s_ashr_i32 s44, s43, 31
	s_cmp_gt_i32 s25, 2
	v_mov_b32_e32 v2, 0
	v_lshlrev_b32_e32 v83, 4, v0
	s_cselect_b32 s46, -1, 0
	s_add_i32 s16, s25, 1
	v_lshl_add_u32 v34, v115, 4, v8
	v_mad_i64_i32 v[32:33], null, v36, s25, 0
	v_cmp_ge_i32_e32 vcc_lo, v0, v1
	v_mov_b32_e32 v28, 0
	s_waitcnt vmcnt(2) lgkmcnt(2)
	v_cmp_eq_u64_e64 s7, 0, v[24:25]
	v_cmp_ne_u64_e64 s10, 0, v[24:25]
	v_mov_b32_e32 v12, 0
	v_ashrrev_i32_e32 v30, 31, v80
	v_cmp_eq_u32_e64 s5, 32, v1
	v_cmp_ne_u32_e64 s6, 32, v1
	s_waitcnt vmcnt(1)
	v_cmp_ne_u32_sdwa s29, v1, v70 src0_sel:DWORD src1_sel:WORD_0
	v_mov_b32_e32 v29, 0
	v_mov_b32_e32 v84, 1
	;; [unrolled: 1-line block ×7, first 2 shown]
	v_lshlrev_b32_e32 v96, 10, v81
	v_lshlrev_b32_e32 v98, 8, v81
	v_ashrrev_i32_e32 v99, 31, v83
	v_sub_nc_u32_e32 v116, 0, v103
	v_cmp_gt_i32_e64 s13, 1, v115
	v_cmp_lt_i32_e64 s14, v115, v35
	v_cmp_le_i32_e64 s15, v115, v35
	v_ashrrev_i32_e32 v35, 31, v34
	s_mov_b32 s27, 0
	s_trap 2
	s_waitcnt vmcnt(0) lgkmcnt(0)
	v_and_b32_e32 v3, 1, v3
	v_cmp_eq_u32_e64 s12, 1, v3
	s_xor_b32 s47, s12, -1
	s_cmp_ge_i32 s16, s25
	s_cselect_b32 s17, s25, 0
	s_add_i32 s56, s25, -2
	s_sub_i32 s58, s16, s17
	s_xor_b32 s57, vcc_lo, -1
	s_ashr_i32 s20, s28, 31
	s_ashr_i32 s59, s58, 31
	s_sub_i32 s60, 0, s25
	s_branch .LBB2_47
.LBB2_45:                               ;   in Loop: Header=BB2_47 Depth=1
	s_or_b32 exec_lo, exec_lo, s18
.LBB2_46:                               ;   in Loop: Header=BB2_47 Depth=1
	s_or_b32 exec_lo, exec_lo, s17
	v_add_co_u32 v28, vcc_lo, v28, v32
	v_add_co_ci_u32_e64 v29, null, v29, v33, vcc_lo
	v_cmp_ge_i64_e32 vcc_lo, v[28:29], v[4:5]
	s_or_b32 s27, vcc_lo, s27
	s_andn2_b32 exec_lo, exec_lo, s27
	s_cbranch_execz .LBB2_1223
.LBB2_47:                               ; =>This Loop Header: Depth=1
                                        ;     Child Loop BB2_57 Depth 2
                                        ;       Child Loop BB2_65 Depth 3
                                        ;       Child Loop BB2_89 Depth 3
	;; [unrolled: 1-line block ×9, first 2 shown]
                                        ;     Child Loop BB2_199 Depth 2
                                        ;       Child Loop BB2_205 Depth 3
                                        ;       Child Loop BB2_229 Depth 3
	;; [unrolled: 1-line block ×3, first 2 shown]
                                        ;     Child Loop BB2_271 Depth 2
                                        ;       Child Loop BB2_274 Depth 3
                                        ;         Child Loop BB2_282 Depth 4
                                        ;         Child Loop BB2_310 Depth 4
	;; [unrolled: 1-line block ×9, first 2 shown]
                                        ;       Child Loop BB2_420 Depth 3
                                        ;         Child Loop BB2_426 Depth 4
                                        ;         Child Loop BB2_454 Depth 4
	;; [unrolled: 1-line block ×3, first 2 shown]
                                        ;     Child Loop BB2_495 Depth 2
                                        ;       Child Loop BB2_503 Depth 3
                                        ;       Child Loop BB2_531 Depth 3
	;; [unrolled: 1-line block ×4, first 2 shown]
                                        ;         Child Loop BB2_574 Depth 4
                                        ;       Child Loop BB2_580 Depth 3
                                        ;         Child Loop BB2_581 Depth 4
                                        ;       Child Loop BB2_590 Depth 3
                                        ;       Child Loop BB2_595 Depth 3
                                        ;         Child Loop BB2_596 Depth 4
                                        ;       Child Loop BB2_608 Depth 3
                                        ;       Child Loop BB2_613 Depth 3
	;; [unrolled: 1-line block ×6, first 2 shown]
                                        ;     Child Loop BB2_678 Depth 2
                                        ;       Child Loop BB2_684 Depth 3
                                        ;       Child Loop BB2_712 Depth 3
	;; [unrolled: 1-line block ×3, first 2 shown]
                                        ;     Child Loop BB2_753 Depth 2
                                        ;       Child Loop BB2_756 Depth 3
                                        ;         Child Loop BB2_764 Depth 4
                                        ;         Child Loop BB2_792 Depth 4
	;; [unrolled: 1-line block ×4, first 2 shown]
                                        ;           Child Loop BB2_835 Depth 5
                                        ;         Child Loop BB2_841 Depth 4
                                        ;           Child Loop BB2_842 Depth 5
                                        ;         Child Loop BB2_851 Depth 4
                                        ;         Child Loop BB2_856 Depth 4
                                        ;           Child Loop BB2_857 Depth 5
                                        ;         Child Loop BB2_869 Depth 4
                                        ;         Child Loop BB2_874 Depth 4
	;; [unrolled: 1-line block ×6, first 2 shown]
                                        ;       Child Loop BB2_939 Depth 3
                                        ;         Child Loop BB2_945 Depth 4
                                        ;         Child Loop BB2_973 Depth 4
	;; [unrolled: 1-line block ×3, first 2 shown]
                                        ;     Child Loop BB2_1017 Depth 2
                                        ;       Child Loop BB2_1025 Depth 3
                                        ;       Child Loop BB2_1049 Depth 3
	;; [unrolled: 1-line block ×9, first 2 shown]
                                        ;     Child Loop BB2_1157 Depth 2
                                        ;       Child Loop BB2_1163 Depth 3
                                        ;       Child Loop BB2_1187 Depth 3
	;; [unrolled: 1-line block ×3, first 2 shown]
	v_sub_co_u32 v48, vcc_lo, v4, v28
	v_sub_co_ci_u32_e64 v49, null, v5, v29, vcc_lo
	s_mov_b32 s17, exec_lo
	v_cmpx_lt_i64_e64 v[48:49], v[32:33]
	s_cbranch_execz .LBB2_53
; %bb.48:                               ;   in Loop: Header=BB2_47 Depth=1
	v_add_co_u32 v10, vcc_lo, s40, v48
	v_add_co_ci_u32_e64 v11, null, s41, v49, vcc_lo
                                        ; implicit-def: $vgpr8_vgpr9
	s_mov_b32 s16, exec_lo
	v_or_b32_e32 v3, s28, v11
	v_cmpx_ne_u64_e32 0, v[2:3]
	s_xor_b32 s22, exec_lo, s16
	s_cbranch_execz .LBB2_50
; %bb.49:                               ;   in Loop: Header=BB2_47 Depth=1
	s_add_u32 s18, s25, s20
	s_mov_b32 s21, s20
	s_addc_u32 s19, s28, s20
	v_ashrrev_i32_e32 v50, 31, v11
	s_xor_b64 s[18:19], s[18:19], s[20:21]
	v_cvt_f32_u32_e32 v3, s18
	v_cvt_f32_u32_e32 v8, s19
	s_sub_u32 s16, 0, s18
	s_subb_u32 s61, 0, s19
	v_add_co_u32 v9, vcc_lo, v10, v50
	v_fmac_f32_e32 v3, 0x4f800000, v8
	v_xor_b32_e32 v51, v9, v50
	v_rcp_f32_e32 v3, v3
	v_mul_f32_e32 v3, 0x5f7ffffc, v3
	v_mul_f32_e32 v8, 0x2f800000, v3
	v_trunc_f32_e32 v8, v8
	v_fmac_f32_e32 v3, 0xcf800000, v8
	v_cvt_u32_f32_e32 v8, v8
	v_cvt_u32_f32_e32 v3, v3
	v_readfirstlane_b32 s21, v8
	v_readfirstlane_b32 s23, v3
	s_mul_i32 s62, s16, s21
	v_add_co_ci_u32_e64 v3, null, v11, v50, vcc_lo
	s_mul_hi_u32 s72, s16, s23
	s_mul_i32 s63, s61, s23
	s_add_i32 s62, s72, s62
	s_mul_i32 s73, s16, s23
	s_add_i32 s62, s62, s63
	s_mul_hi_u32 s72, s23, s73
	s_mul_i32 s75, s23, s62
	s_mul_hi_u32 s74, s21, s73
	s_mul_i32 s63, s21, s73
	s_mul_hi_u32 s73, s23, s62
	s_add_u32 s72, s72, s75
	s_addc_u32 s73, 0, s73
	s_mul_hi_u32 s76, s21, s62
	s_add_u32 s63, s72, s63
	s_mul_i32 s62, s21, s62
	s_addc_u32 s63, s73, s74
	s_addc_u32 s72, s76, 0
	s_add_u32 s62, s63, s62
	s_addc_u32 s63, 0, s72
	s_add_u32 s23, s23, s62
	s_cselect_b32 s62, -1, 0
	s_mul_hi_u32 s72, s16, s23
	s_cmp_lg_u32 s62, 0
	s_mul_i32 s62, s16, s23
	s_addc_u32 s21, s21, s63
	s_mul_i32 s61, s61, s23
	s_mul_i32 s16, s16, s21
	s_mul_hi_u32 s63, s23, s62
	s_add_i32 s16, s72, s16
	s_mul_hi_u32 s72, s21, s62
	s_add_i32 s16, s16, s61
	s_mul_i32 s61, s21, s62
	s_mul_i32 s74, s23, s16
	s_mul_hi_u32 s73, s23, s16
	s_add_u32 s63, s63, s74
	s_addc_u32 s73, 0, s73
	s_mul_hi_u32 s62, s21, s16
	s_add_u32 s61, s63, s61
	s_mul_i32 s16, s21, s16
	s_addc_u32 s61, s73, s72
	s_addc_u32 s62, s62, 0
	s_add_u32 s16, s61, s16
	s_addc_u32 s61, 0, s62
	s_add_u32 s16, s23, s16
	s_cselect_b32 s23, -1, 0
	v_xor_b32_e32 v3, v3, v50
	s_cmp_lg_u32 s23, 0
	v_mul_hi_u32 v52, v51, s16
	s_addc_u32 s21, s21, s61
	v_mad_u64_u32 v[8:9], null, v51, s21, 0
	v_mad_u64_u32 v[10:11], null, v3, s16, 0
	;; [unrolled: 1-line block ×3, first 2 shown]
	v_add_co_u32 v8, vcc_lo, v52, v8
	v_add_co_ci_u32_e64 v9, null, 0, v9, vcc_lo
	v_add_co_u32 v8, vcc_lo, v8, v10
	v_add_co_ci_u32_e32 v8, vcc_lo, v9, v11, vcc_lo
	v_add_co_ci_u32_e32 v9, vcc_lo, 0, v37, vcc_lo
	v_add_co_u32 v10, vcc_lo, v8, v36
	v_add_co_ci_u32_e64 v11, null, 0, v9, vcc_lo
	v_mul_lo_u32 v36, s19, v10
	v_mad_u64_u32 v[8:9], null, s18, v10, 0
	v_mul_lo_u32 v37, s18, v11
	v_sub_co_u32 v8, vcc_lo, v51, v8
	v_add3_u32 v9, v9, v37, v36
	v_add_co_u32 v37, s16, v10, 2
	v_add_co_ci_u32_e64 v51, null, 0, v11, s16
	v_sub_nc_u32_e32 v36, v3, v9
	v_sub_co_u32 v52, s16, v8, s18
	v_sub_co_ci_u32_e64 v3, null, v3, v9, vcc_lo
	v_subrev_co_ci_u32_e64 v36, null, s19, v36, vcc_lo
	v_cmp_le_u32_e32 vcc_lo, s18, v52
	v_subrev_co_ci_u32_e64 v36, null, 0, v36, s16
	v_cndmask_b32_e64 v9, 0, -1, vcc_lo
	v_cmp_le_u32_e32 vcc_lo, s19, v36
	v_cndmask_b32_e64 v52, 0, -1, vcc_lo
	v_cmp_le_u32_e32 vcc_lo, s18, v8
	v_cndmask_b32_e64 v8, 0, -1, vcc_lo
	v_cmp_le_u32_e32 vcc_lo, s19, v3
	v_cndmask_b32_e64 v53, 0, -1, vcc_lo
	v_cmp_eq_u32_e32 vcc_lo, s19, v36
	v_cndmask_b32_e32 v9, v52, v9, vcc_lo
	v_add_co_u32 v36, vcc_lo, v10, 1
	v_add_co_ci_u32_e64 v52, null, 0, v11, vcc_lo
	v_cmp_eq_u32_e32 vcc_lo, s19, v3
	v_cndmask_b32_e32 v3, v53, v8, vcc_lo
	v_cmp_ne_u32_e32 vcc_lo, 0, v9
	v_xor_b32_e32 v9, s20, v50
	v_cmp_ne_u32_e64 s16, 0, v3
	v_cndmask_b32_e32 v3, v36, v37, vcc_lo
	v_cndmask_b32_e32 v8, v52, v51, vcc_lo
	v_cndmask_b32_e64 v3, v10, v3, s16
	v_cndmask_b32_e64 v8, v11, v8, s16
	v_xor_b32_e32 v3, v3, v9
	v_xor_b32_e32 v10, v8, v9
	v_sub_co_u32 v8, vcc_lo, v3, v9
	v_sub_co_ci_u32_e64 v9, null, v10, v9, vcc_lo
                                        ; implicit-def: $vgpr10
.LBB2_50:                               ;   in Loop: Header=BB2_47 Depth=1
	s_andn2_saveexec_b32 s16, s22
	s_cbranch_execz .LBB2_52
; %bb.51:                               ;   in Loop: Header=BB2_47 Depth=1
	v_cvt_f32_u32_e32 v3, s25
	v_rcp_iflag_f32_e32 v3, v3
	v_mul_f32_e32 v3, 0x4f7ffffe, v3
	v_cvt_u32_f32_e32 v3, v3
	v_mul_lo_u32 v8, s60, v3
	v_mul_hi_u32 v8, v3, v8
	v_add_nc_u32_e32 v3, v3, v8
	v_mul_hi_u32 v3, v10, v3
	v_mul_lo_u32 v8, v3, s25
	v_add_nc_u32_e32 v9, 1, v3
	v_sub_nc_u32_e32 v8, v10, v8
	v_subrev_nc_u32_e32 v10, s25, v8
	v_cmp_le_u32_e32 vcc_lo, s25, v8
	v_cndmask_b32_e32 v8, v8, v10, vcc_lo
	v_cndmask_b32_e32 v3, v3, v9, vcc_lo
	v_cmp_le_u32_e32 vcc_lo, s25, v8
	v_add_nc_u32_e32 v9, 1, v3
	v_cndmask_b32_e32 v8, v3, v9, vcc_lo
	v_mov_b32_e32 v9, v2
.LBB2_52:                               ;   in Loop: Header=BB2_47 Depth=1
	s_or_b32 exec_lo, exec_lo, s16
	v_add_co_u32 v3, vcc_lo, v8, 15
	v_add_co_ci_u32_e64 v37, null, 0, v9, vcc_lo
	v_and_b32_e32 v36, -16, v3
.LBB2_53:                               ;   in Loop: Header=BB2_47 Depth=1
	s_or_b32 exec_lo, exec_lo, s17
	v_mul_lo_u32 v3, v37, s43
	v_mul_lo_u32 v8, v36, s44
	v_mad_u64_u32 v[10:11], null, v36, s43, 0
	v_mov_b32_e32 v65, 0
	v_add3_u32 v11, v11, v8, v3
	v_sub_co_u32 v8, vcc_lo, v48, v10
	v_sub_co_ci_u32_e64 v9, null, v49, v11, vcc_lo
	v_cmp_lt_i64_e32 vcc_lo, v[36:37], v[8:9]
	v_cndmask_b32_e32 v8, v8, v36, vcc_lo
	v_add_co_u32 v119, vcc_lo, v28, v14
	v_add_co_ci_u32_e64 v40, null, v29, v15, vcc_lo
	v_max_i32_e32 v64, 0, v8
	v_cmp_lt_i32_e32 vcc_lo, 0, v8
	v_add_nc_u32_e32 v3, 31, v64
	s_and_b32 s16, s57, vcc_lo
	v_lshrrev_b32_e32 v3, 1, v3
	v_and_b32_e32 v9, 0x3ffffff0, v3
	v_mov_b32_e32 v3, 0
	v_max_i32_e32 v8, s45, v9
	s_and_saveexec_b32 s18, s16
	s_cbranch_execz .LBB2_195
; %bb.54:                               ;   in Loop: Header=BB2_47 Depth=1
	v_mov_b32_e32 v65, 0
	s_mov_b32 s22, 1
	s_mov_b32 s21, -1
	s_mov_b32 s19, 0
	s_branch .LBB2_57
.LBB2_55:                               ;   in Loop: Header=BB2_57 Depth=2
	s_or_b32 exec_lo, exec_lo, s17
	v_add_co_u32 v38, vcc_lo, v38, 2
	v_add_co_ci_u32_e64 v39, null, 0, v39, vcc_lo
	s_waitcnt vmcnt(0) lgkmcnt(0)
	s_waitcnt_vscnt null, 0x0
	flat_store_dwordx2 v[20:21], v[38:39]
.LBB2_56:                               ;   in Loop: Header=BB2_57 Depth=2
	s_or_b32 exec_lo, exec_lo, s16
	v_add_nc_u32_e32 v65, v8, v65
	s_xor_b32 s16, s21, -1
	v_mov_b32_e32 v3, s22
	s_mov_b32 s21, 0
	s_mov_b32 s22, 2
	v_cmp_ge_i32_e32 vcc_lo, v65, v64
	s_or_b32 s16, s16, vcc_lo
	s_and_b32 s16, exec_lo, s16
	s_or_b32 s19, s16, s19
	s_andn2_b32 exec_lo, exec_lo, s19
	s_cbranch_execz .LBB2_194
.LBB2_57:                               ;   Parent Loop BB2_47 Depth=1
                                        ; =>  This Loop Header: Depth=2
                                        ;       Child Loop BB2_65 Depth 3
                                        ;       Child Loop BB2_89 Depth 3
	;; [unrolled: 1-line block ×9, first 2 shown]
	s_and_saveexec_b32 s16, s4
	s_cbranch_execz .LBB2_59
; %bb.58:                               ;   in Loop: Header=BB2_57 Depth=2
	s_trap 2
	ds_read_b64 v[50:51], v0
	s_waitcnt lgkmcnt(0)
	v_add_co_u32 v3, vcc_lo, v50, v119
	v_add_co_ci_u32_e64 v9, null, v51, v40, vcc_lo
	v_ashrrev_i32_e32 v51, 31, v65
	v_add_co_u32 v3, vcc_lo, v3, v10
	v_add_co_ci_u32_e64 v9, null, v9, v11, vcc_lo
	v_add_co_u32 v50, vcc_lo, v3, v65
	v_add_co_ci_u32_e64 v51, null, v9, v51, vcc_lo
	v_mov_b32_e32 v3, v2
	ds_write_b64 v0, v[50:51]
	ds_write_b64 v0, v[2:3]
.LBB2_59:                               ;   in Loop: Header=BB2_57 Depth=2
	s_or_b32 exec_lo, exec_lo, s16
	v_sub_nc_u32_e32 v3, v64, v65
	v_and_b32_e32 v9, 8, v71
	s_mov_b32 s17, exec_lo
	v_min_i32_e32 v8, v8, v3
	v_cmpx_ne_u32_e32 0, v9
	s_cbranch_execz .LBB2_81
; %bb.60:                               ;   in Loop: Header=BB2_57 Depth=2
	s_waitcnt vmcnt(0) lgkmcnt(1)
	v_add_co_u32 v52, vcc_lo, v26, 8
	v_add_co_ci_u32_e64 v53, null, 0, v27, vcc_lo
	v_add_co_u32 v50, vcc_lo, v38, 2
	v_add_co_ci_u32_e64 v51, null, 0, v39, vcc_lo
	s_mov_b32 s23, exec_lo
	v_cmpx_lt_u64_e64 v[52:53], v[50:51]
	s_cbranch_execz .LBB2_72
; %bb.61:                               ;   in Loop: Header=BB2_57 Depth=2
	v_and_b32_e32 v3, 64, v71
	s_mov_b32 s61, 0
	s_mov_b32 s73, 0
                                        ; implicit-def: $sgpr62
                                        ; implicit-def: $sgpr63
                                        ; implicit-def: $sgpr72
	v_cmp_eq_u32_e32 vcc_lo, 0, v3
	s_branch .LBB2_65
.LBB2_62:                               ;   in Loop: Header=BB2_65 Depth=3
	s_waitcnt vmcnt(0) lgkmcnt(0)
	v_add_co_u32 v52, s16, v26, 8
	v_add_co_ci_u32_e64 v53, null, 0, v27, s16
	s_or_b32 s76, s76, exec_lo
	v_cmp_ge_u64_e64 s16, v[52:53], v[50:51]
	s_orn2_b32 s75, s16, exec_lo
.LBB2_63:                               ;   in Loop: Header=BB2_65 Depth=3
	s_or_b32 exec_lo, exec_lo, s78
	s_andn2_b32 s16, s72, exec_lo
	s_and_b32 s72, s76, exec_lo
	s_andn2_b32 s63, s63, exec_lo
	s_and_b32 s75, s75, exec_lo
	s_or_b32 s72, s16, s72
	s_or_b32 s63, s63, s75
.LBB2_64:                               ;   in Loop: Header=BB2_65 Depth=3
	s_or_b32 exec_lo, exec_lo, s74
	s_and_b32 s16, exec_lo, s63
	s_or_b32 s61, s16, s61
	s_andn2_b32 s16, s62, exec_lo
	s_and_b32 s62, s72, exec_lo
	s_or_b32 s62, s16, s62
	s_andn2_b32 exec_lo, exec_lo, s61
	s_cbranch_execz .LBB2_69
.LBB2_65:                               ;   Parent Loop BB2_47 Depth=1
                                        ;     Parent Loop BB2_57 Depth=2
                                        ; =>    This Inner Loop Header: Depth=3
	s_sleep 1
	s_waitcnt vmcnt(0) lgkmcnt(0)
	flat_load_dwordx2 v[26:27], v[20:21] glc dlc
	s_or_b32 s72, s72, exec_lo
	s_or_b32 s63, s63, exec_lo
                                        ; implicit-def: $vgpr3
	s_and_saveexec_b32 s74, vcc_lo
	s_cbranch_execz .LBB2_64
; %bb.66:                               ;   in Loop: Header=BB2_65 Depth=3
	s_cmpk_lt_i32 s73, 0x270f
	s_mov_b32 s75, -1
	s_cselect_b32 s77, -1, 0
	s_cmpk_gt_i32 s73, 0x270e
	s_cbranch_scc0 .LBB2_68
; %bb.67:                               ;   in Loop: Header=BB2_65 Depth=3
	s_trap 2
	ds_read_b64 v[52:53], v0
	s_andn2_b32 s73, s77, exec_lo
	s_mov_b32 s76, 0
	s_waitcnt vmcnt(0) lgkmcnt(0)
	s_waitcnt_vscnt null, 0x0
	flat_load_dword v3, v[52:53] glc dlc
	s_waitcnt vmcnt(0) lgkmcnt(0)
	buffer_gl1_inv
	buffer_gl0_inv
	v_cmp_eq_u32_e64 s16, 0, v3
	s_and_b32 s16, s16, exec_lo
	s_or_b32 s77, s73, s16
	s_mov_b32 s73, 0
	s_and_saveexec_b32 s78, s77
	s_cbranch_execz .LBB2_63
	s_branch .LBB2_62
.LBB2_68:                               ;   in Loop: Header=BB2_65 Depth=3
	s_add_i32 s73, s73, 1
	s_mov_b32 s76, -1
                                        ; implicit-def: $vgpr3
	s_and_saveexec_b32 s78, s77
	s_cbranch_execz .LBB2_63
	s_branch .LBB2_62
.LBB2_69:                               ;   in Loop: Header=BB2_57 Depth=2
	s_or_b32 exec_lo, exec_lo, s61
	s_xor_b32 s16, s62, -1
	s_and_saveexec_b32 s61, s16
	s_xor_b32 s16, exec_lo, s61
	s_cbranch_execz .LBB2_71
; %bb.70:                               ;   in Loop: Header=BB2_57 Depth=2
	v_or_b32_e32 v71, 64, v71
	s_waitcnt vmcnt(0) lgkmcnt(0)
	s_waitcnt_vscnt null, 0x0
	ds_write_b32 v0, v3
	s_trap 2
.LBB2_71:                               ;   in Loop: Header=BB2_57 Depth=2
	s_or_b32 exec_lo, exec_lo, s16
.LBB2_72:                               ;   in Loop: Header=BB2_57 Depth=2
	s_or_b32 exec_lo, exec_lo, s23
	v_and_b32_e32 v3, 0x100, v71
	s_mov_b32 s16, -1
	;;#ASMSTART
	s_wakeup
	;;#ASMEND
	v_cmp_ne_u32_e32 vcc_lo, 0, v3
	v_and_b32_e32 v3, 7, v38
                                        ; implicit-def: $vgpr38_vgpr39
	s_and_saveexec_b32 s23, vcc_lo
	s_cbranch_execz .LBB2_76
; %bb.73:                               ;   in Loop: Header=BB2_57 Depth=2
	v_mad_u64_u32 v[52:53], null, v3, 24, v[6:7]
	v_ashrrev_i32_e32 v9, 31, v8
	flat_load_dword v38, v[52:53]
	flat_store_dwordx2 v[52:53], v[8:9] offset:8
	s_waitcnt vmcnt(0) lgkmcnt(1)
	v_cmp_eq_u32_e64 s16, 1, v38
	v_cmp_ne_u32_e32 vcc_lo, 1, v38
                                        ; implicit-def: $vgpr38_vgpr39
	s_and_saveexec_b32 s61, s16
	s_cbranch_execz .LBB2_75
; %bb.74:                               ;   in Loop: Header=BB2_57 Depth=2
	flat_load_dword v38, v[52:53] offset:4 glc dlc
	s_waitcnt vmcnt(0) lgkmcnt(0)
	v_ashrrev_i32_e32 v39, 31, v38
.LBB2_75:                               ;   in Loop: Header=BB2_57 Depth=2
	s_or_b32 exec_lo, exec_lo, s61
	s_orn2_b32 s16, vcc_lo, exec_lo
.LBB2_76:                               ;   in Loop: Header=BB2_57 Depth=2
	s_or_b32 exec_lo, exec_lo, s23
	s_and_saveexec_b32 s23, s16
; %bb.77:                               ;   in Loop: Header=BB2_57 Depth=2
	v_mad_i64_i32 v[38:39], null, v3, v80, 0
; %bb.78:                               ;   in Loop: Header=BB2_57 Depth=2
	s_or_b32 exec_lo, exec_lo, s23
	v_add_co_u32 v38, vcc_lo, v22, v38
	v_and_b32_e32 v3, 0x2000, v71
	v_add_co_ci_u32_e64 v39, null, v23, v39, vcc_lo
	s_mov_b32 s16, exec_lo
	ds_write_b64 v0, v[38:39] offset:784
	v_cmpx_ne_u32_e32 0, v3
	s_cbranch_execz .LBB2_80
; %bb.79:                               ;   in Loop: Header=BB2_57 Depth=2
	ds_read_b64 v[38:39], v0 offset:872
	s_waitcnt lgkmcnt(0)
	v_add_co_u32 v38, vcc_lo, v38, 1
	v_add_co_ci_u32_e64 v39, null, 0, v39, vcc_lo
	ds_write_b64 v0, v[38:39] offset:872
.LBB2_80:                               ;   in Loop: Header=BB2_57 Depth=2
	s_or_b32 exec_lo, exec_lo, s16
	v_mov_b32_e32 v38, v50
	v_mov_b32_e32 v39, v51
.LBB2_81:                               ;   in Loop: Header=BB2_57 Depth=2
	s_or_b32 exec_lo, exec_lo, s17
	s_and_saveexec_b32 s16, s6
	s_cbranch_execz .LBB2_100
; %bb.82:                               ;   in Loop: Header=BB2_57 Depth=2
	s_and_saveexec_b32 s17, s29
	s_xor_b32 s17, exec_lo, s17
	s_cbranch_execz .LBB2_97
; %bb.83:                               ;   in Loop: Header=BB2_57 Depth=2
	s_and_saveexec_b32 s23, s11
	s_cbranch_execz .LBB2_96
; %bb.84:                               ;   in Loop: Header=BB2_57 Depth=2
	s_mov_b32 s62, exec_lo
	s_mov_b32 s61, exec_lo
	v_mbcnt_lo_u32_b32 v3, s62, 0
	s_waitcnt vmcnt(0) lgkmcnt(0)
	s_waitcnt_vscnt null, 0x0
	buffer_gl1_inv
	buffer_gl0_inv
	v_cmpx_eq_u32_e32 0, v3
	s_cbranch_execz .LBB2_86
; %bb.85:                               ;   in Loop: Header=BB2_57 Depth=2
	s_bcnt1_i32_b32 s62, s62
	v_mov_b32_e32 v51, v2
	v_mov_b32_e32 v50, s62
	ds_add_u64 v0, v[50:51]
	s_trap 2
.LBB2_86:                               ;   in Loop: Header=BB2_57 Depth=2
	s_or_b32 exec_lo, exec_lo, s61
	s_trap 2
	ds_read_b64 v[50:51], v0
	s_waitcnt lgkmcnt(0)
	buffer_gl0_inv
	v_add_co_u32 v12, vcc_lo, v12, v81
	v_add_co_ci_u32_e64 v13, null, 0, v13, vcc_lo
	s_mov_b32 s61, exec_lo
	v_cmpx_lt_u64_e64 v[50:51], v[12:13]
	s_cbranch_execz .LBB2_95
; %bb.87:                               ;   in Loop: Header=BB2_57 Depth=2
	s_mov_b32 s62, 0
	s_mov_b32 s73, 0
                                        ; implicit-def: $sgpr63
                                        ; implicit-def: $sgpr72
	s_inst_prefetch 0x1
	s_branch .LBB2_89
	.p2align	6
.LBB2_88:                               ;   in Loop: Header=BB2_89 Depth=3
	s_or_b32 exec_lo, exec_lo, s75
	s_and_b32 s74, exec_lo, s76
	s_or_b32 s62, s74, s62
	s_andn2_b32 s63, s63, exec_lo
	s_and_b32 s74, s72, exec_lo
	s_or_b32 s63, s63, s74
	s_andn2_b32 exec_lo, exec_lo, s62
	s_cbranch_execz .LBB2_93
.LBB2_89:                               ;   Parent Loop BB2_47 Depth=1
                                        ;     Parent Loop BB2_57 Depth=2
                                        ; =>    This Inner Loop Header: Depth=3
	s_add_i32 s73, s73, 1
	s_cmpk_lg_i32 s73, 0x2710
	s_cselect_b32 s74, -1, 0
	s_and_b32 vcc_lo, exec_lo, s74
	s_cbranch_vccz .LBB2_91
; %bb.90:                               ;   in Loop: Header=BB2_89 Depth=3
	s_mov_b32 s76, -1
	s_or_b32 s72, s72, exec_lo
	s_and_saveexec_b32 s75, s74
	s_cbranch_execz .LBB2_88
	s_branch .LBB2_92
	.p2align	6
.LBB2_91:                               ;   in Loop: Header=BB2_89 Depth=3
	s_trap 2
	ds_read_b64 v[50:51], v0
	s_andn2_b32 s74, s74, exec_lo
	s_mov_b32 s73, 0
	s_waitcnt lgkmcnt(0)
	flat_load_dword v3, v[50:51] glc dlc
	s_waitcnt vmcnt(0) lgkmcnt(0)
	buffer_gl1_inv
	buffer_gl0_inv
	v_cmp_eq_u32_e32 vcc_lo, 0, v3
	s_and_b32 s75, vcc_lo, exec_lo
	s_or_b32 s74, s74, s75
	s_mov_b32 s76, -1
	s_or_b32 s72, s72, exec_lo
	s_and_saveexec_b32 s75, s74
	s_cbranch_execz .LBB2_88
.LBB2_92:                               ;   in Loop: Header=BB2_89 Depth=3
	s_sleep 1
	s_trap 2
	ds_read_b64 v[50:51], v0
	s_waitcnt lgkmcnt(0)
	buffer_gl0_inv
	s_andn2_b32 s72, s72, exec_lo
	v_cmp_ge_u64_e32 vcc_lo, v[50:51], v[12:13]
	s_orn2_b32 s76, vcc_lo, exec_lo
	s_branch .LBB2_88
.LBB2_93:                               ;   in Loop: Header=BB2_57 Depth=2
	s_inst_prefetch 0x2
	s_or_b32 exec_lo, exec_lo, s62
	s_and_saveexec_b32 s62, s63
	s_xor_b32 s62, exec_lo, s62
	s_cbranch_execz .LBB2_95
; %bb.94:                               ;   in Loop: Header=BB2_57 Depth=2
	ds_write_b32 v0, v84
	s_trap 2
.LBB2_95:                               ;   in Loop: Header=BB2_57 Depth=2
	s_or_b32 exec_lo, exec_lo, s61
	;;#ASMSTART
	s_wakeup
	;;#ASMEND
.LBB2_96:                               ;   in Loop: Header=BB2_57 Depth=2
	s_or_b32 exec_lo, exec_lo, s23
.LBB2_97:                               ;   in Loop: Header=BB2_57 Depth=2
	s_andn2_saveexec_b32 s17, s17
	s_cbranch_execz .LBB2_99
; %bb.98:                               ;   in Loop: Header=BB2_57 Depth=2
	s_waitcnt vmcnt(0) lgkmcnt(0)
	s_waitcnt_vscnt null, 0x0
	buffer_gl1_inv
	buffer_gl0_inv
	s_barrier
.LBB2_99:                               ;   in Loop: Header=BB2_57 Depth=2
	s_or_b32 exec_lo, exec_lo, s17
.LBB2_100:                              ;   in Loop: Header=BB2_57 Depth=2
	s_or_b32 exec_lo, exec_lo, s16
	s_trap 2
	ds_read_b32 v3, v0
	v_and_b32_e32 v9, 0x4000, v71
	s_xor_b32 s16, s5, -1
	v_cmp_ne_u32_e32 vcc_lo, 0, v9
	s_and_b32 s17, s16, vcc_lo
	s_and_saveexec_b32 s16, s17
	s_cbranch_execz .LBB2_119
; %bb.101:                              ;   in Loop: Header=BB2_57 Depth=2
	s_and_saveexec_b32 s17, s29
	s_xor_b32 s17, exec_lo, s17
	s_cbranch_execz .LBB2_116
; %bb.102:                              ;   in Loop: Header=BB2_57 Depth=2
	s_and_saveexec_b32 s23, s11
	s_cbranch_execz .LBB2_115
; %bb.103:                              ;   in Loop: Header=BB2_57 Depth=2
	s_mov_b32 s62, exec_lo
	s_mov_b32 s61, exec_lo
	v_mbcnt_lo_u32_b32 v9, s62, 0
	s_waitcnt vmcnt(0) lgkmcnt(0)
	s_waitcnt_vscnt null, 0x0
	buffer_gl1_inv
	buffer_gl0_inv
	v_cmpx_eq_u32_e32 0, v9
	s_cbranch_execz .LBB2_105
; %bb.104:                              ;   in Loop: Header=BB2_57 Depth=2
	s_bcnt1_i32_b32 s62, s62
	v_mov_b32_e32 v51, v2
	v_mov_b32_e32 v50, s62
	ds_add_u64 v0, v[50:51]
	s_trap 2
.LBB2_105:                              ;   in Loop: Header=BB2_57 Depth=2
	s_or_b32 exec_lo, exec_lo, s61
	s_trap 2
	ds_read_b64 v[50:51], v0
	s_waitcnt lgkmcnt(0)
	buffer_gl0_inv
	v_add_co_u32 v12, vcc_lo, v12, v81
	v_add_co_ci_u32_e64 v13, null, 0, v13, vcc_lo
	s_mov_b32 s61, exec_lo
	v_cmpx_lt_u64_e64 v[50:51], v[12:13]
	s_cbranch_execz .LBB2_114
; %bb.106:                              ;   in Loop: Header=BB2_57 Depth=2
	s_mov_b32 s62, 0
	s_mov_b32 s73, 0
                                        ; implicit-def: $sgpr63
                                        ; implicit-def: $sgpr72
	s_inst_prefetch 0x1
	s_branch .LBB2_108
	.p2align	6
.LBB2_107:                              ;   in Loop: Header=BB2_108 Depth=3
	s_or_b32 exec_lo, exec_lo, s75
	s_and_b32 s74, exec_lo, s76
	s_or_b32 s62, s74, s62
	s_andn2_b32 s63, s63, exec_lo
	s_and_b32 s74, s72, exec_lo
	s_or_b32 s63, s63, s74
	s_andn2_b32 exec_lo, exec_lo, s62
	s_cbranch_execz .LBB2_112
.LBB2_108:                              ;   Parent Loop BB2_47 Depth=1
                                        ;     Parent Loop BB2_57 Depth=2
                                        ; =>    This Inner Loop Header: Depth=3
	s_add_i32 s73, s73, 1
	s_cmpk_lg_i32 s73, 0x2710
	s_cselect_b32 s74, -1, 0
	s_and_b32 vcc_lo, exec_lo, s74
	s_cbranch_vccz .LBB2_110
; %bb.109:                              ;   in Loop: Header=BB2_108 Depth=3
	s_mov_b32 s76, -1
	s_or_b32 s72, s72, exec_lo
	s_and_saveexec_b32 s75, s74
	s_cbranch_execz .LBB2_107
	s_branch .LBB2_111
	.p2align	6
.LBB2_110:                              ;   in Loop: Header=BB2_108 Depth=3
	s_trap 2
	ds_read_b64 v[50:51], v0
	s_andn2_b32 s74, s74, exec_lo
	s_mov_b32 s73, 0
	s_waitcnt lgkmcnt(0)
	flat_load_dword v9, v[50:51] glc dlc
	s_waitcnt vmcnt(0) lgkmcnt(0)
	buffer_gl1_inv
	buffer_gl0_inv
	v_cmp_eq_u32_e32 vcc_lo, 0, v9
	s_and_b32 s75, vcc_lo, exec_lo
	s_or_b32 s74, s74, s75
	s_mov_b32 s76, -1
	s_or_b32 s72, s72, exec_lo
	s_and_saveexec_b32 s75, s74
	s_cbranch_execz .LBB2_107
.LBB2_111:                              ;   in Loop: Header=BB2_108 Depth=3
	s_sleep 1
	s_trap 2
	ds_read_b64 v[50:51], v0
	s_waitcnt lgkmcnt(0)
	buffer_gl0_inv
	s_andn2_b32 s72, s72, exec_lo
	v_cmp_ge_u64_e32 vcc_lo, v[50:51], v[12:13]
	s_orn2_b32 s76, vcc_lo, exec_lo
	s_branch .LBB2_107
.LBB2_112:                              ;   in Loop: Header=BB2_57 Depth=2
	s_inst_prefetch 0x2
	s_or_b32 exec_lo, exec_lo, s62
	s_and_saveexec_b32 s62, s63
	s_xor_b32 s62, exec_lo, s62
	s_cbranch_execz .LBB2_114
; %bb.113:                              ;   in Loop: Header=BB2_57 Depth=2
	ds_write_b32 v0, v84
	s_trap 2
.LBB2_114:                              ;   in Loop: Header=BB2_57 Depth=2
	s_or_b32 exec_lo, exec_lo, s61
	;;#ASMSTART
	s_wakeup
	;;#ASMEND
.LBB2_115:                              ;   in Loop: Header=BB2_57 Depth=2
	s_or_b32 exec_lo, exec_lo, s23
.LBB2_116:                              ;   in Loop: Header=BB2_57 Depth=2
	s_andn2_saveexec_b32 s17, s17
	s_cbranch_execz .LBB2_118
; %bb.117:                              ;   in Loop: Header=BB2_57 Depth=2
	s_waitcnt vmcnt(0) lgkmcnt(0)
	s_waitcnt_vscnt null, 0x0
	buffer_gl1_inv
	buffer_gl0_inv
	s_barrier
.LBB2_118:                              ;   in Loop: Header=BB2_57 Depth=2
	s_or_b32 exec_lo, exec_lo, s17
.LBB2_119:                              ;   in Loop: Header=BB2_57 Depth=2
	s_or_b32 exec_lo, exec_lo, s16
	s_trap 2
	ds_read_b64 v[50:51], v0
	s_waitcnt lgkmcnt(0)
	v_cmp_eq_u64_e32 vcc_lo, 0, v[50:51]
	s_cbranch_vccnz .LBB2_127
; %bb.120:                              ;   in Loop: Header=BB2_57 Depth=2
	s_trap 2
	ds_read_b64 v[52:53], v0
	s_waitcnt lgkmcnt(0)
	v_cmp_eq_u64_e32 vcc_lo, 0, v[52:53]
	s_cbranch_vccnz .LBB2_127
; %bb.121:                              ;   in Loop: Header=BB2_57 Depth=2
	s_mov_b32 s16, -1
	s_and_saveexec_b32 s17, s13
	s_cbranch_execz .LBB2_123
; %bb.122:                              ;   in Loop: Header=BB2_57 Depth=2
	ds_read_b32 v9, v0 offset:720
	s_waitcnt lgkmcnt(0)
	v_and_b32_e32 v9, 15, v9
	v_cmp_eq_u32_e32 vcc_lo, 0, v9
	s_orn2_b32 s16, vcc_lo, exec_lo
.LBB2_123:                              ;   in Loop: Header=BB2_57 Depth=2
	s_or_b32 exec_lo, exec_lo, s17
	s_and_saveexec_b32 s17, s14
	s_cbranch_execz .LBB2_125
; %bb.124:                              ;   in Loop: Header=BB2_57 Depth=2
	ds_read_b32 v9, v0 offset:784
	s_waitcnt lgkmcnt(0)
	v_and_b32_e32 v9, 15, v9
	v_cmp_eq_u32_e32 vcc_lo, 0, v9
	s_and_b32 s23, s16, vcc_lo
	s_andn2_b32 s16, s16, exec_lo
	s_and_b32 s23, s23, exec_lo
	s_or_b32 s16, s16, s23
.LBB2_125:                              ;   in Loop: Header=BB2_57 Depth=2
	s_or_b32 exec_lo, exec_lo, s17
	v_cmp_eq_u32_e32 vcc_lo, 0, v3
	s_xor_b32 s16, s16, -1
	v_mov_b32_e32 v55, v0
	v_cndmask_b32_e64 v9, 0, 1, s16
	v_mov_b32_e32 v42, v103
	v_cndmask_b32_e32 v3, 0, v8, vcc_lo
	s_mov_b32 s16, -1
	v_cmp_ne_u32_e32 vcc_lo, 0, v9
	v_mov_b32_e32 v9, 0
	v_mov_b32_e32 v54, v3
	s_cbranch_vccz .LBB2_128
; %bb.126:                              ;   in Loop: Header=BB2_57 Depth=2
	s_and_saveexec_b32 s17, s16
	s_cbranch_execnz .LBB2_141
	s_branch .LBB2_149
.LBB2_127:                              ;   in Loop: Header=BB2_57 Depth=2
	s_mov_b32 s16, 0
	s_and_saveexec_b32 s17, s6
	s_cbranch_execnz .LBB2_150
	s_branch .LBB2_168
.LBB2_128:                              ;   in Loop: Header=BB2_57 Depth=2
	v_ashrrev_i32_e32 v9, 31, v3
	s_mov_b32 s17, exec_lo
	v_lshrrev_b32_e32 v9, 22, v9
	v_add_nc_u32_e32 v9, v3, v9
	v_ashrrev_i32_e32 v9, 10, v9
	v_sub_nc_u32_e32 v67, v9, v103
	v_cmpx_lt_i32_e32 0, v67
	s_cbranch_execz .LBB2_132
; %bb.129:                              ;   in Loop: Header=BB2_57 Depth=2
	v_mov_b32_e32 v55, v35
	v_mov_b32_e32 v54, v34
	s_mov_b32 s23, 0
	.p2align	6
.LBB2_130:                              ;   Parent Loop BB2_47 Depth=1
                                        ;     Parent Loop BB2_57 Depth=2
                                        ; =>    This Inner Loop Header: Depth=3
	v_add_co_u32 v68, vcc_lo, v50, v54
	v_add_co_ci_u32_e64 v69, null, v51, v55, vcc_lo
	v_sub_nc_u32_e32 v67, v67, v81
	s_clause 0x1
	global_load_dwordx4 v[41:44], v[68:69], off slc
	global_load_dwordx4 v[56:59], v[68:69], off offset:512 slc
	v_add_co_u32 v68, vcc_lo, v52, v54
	v_add_co_ci_u32_e64 v69, null, v53, v55, vcc_lo
	v_cmp_gt_i32_e32 vcc_lo, 1, v67
	v_add_co_u32 v54, s16, v54, v96
	v_add_co_ci_u32_e64 v55, null, 0, v55, s16
	s_or_b32 s23, vcc_lo, s23
	s_waitcnt vmcnt(1)
	global_store_dwordx4 v[68:69], v[41:44], off glc slc
	s_waitcnt vmcnt(0)
	global_store_dwordx4 v[68:69], v[56:59], off offset:512 glc slc
	s_andn2_b32 exec_lo, exec_lo, s23
	s_cbranch_execnz .LBB2_130
; %bb.131:                              ;   in Loop: Header=BB2_57 Depth=2
	s_or_b32 exec_lo, exec_lo, s23
.LBB2_132:                              ;   in Loop: Header=BB2_57 Depth=2
	s_or_b32 exec_lo, exec_lo, s17
	v_lshlrev_b32_e32 v66, 10, v9
	v_mov_b32_e32 v9, 0
	s_mov_b32 s16, 0
	s_mov_b32 s23, exec_lo
                                        ; implicit-def: $vgpr54
                                        ; implicit-def: $vgpr55
                                        ; implicit-def: $vgpr42
	v_cmpx_ne_u32_e64 v3, v66
	s_cbranch_execz .LBB2_140
; %bb.133:                              ;   in Loop: Header=BB2_57 Depth=2
	v_lshlrev_b32_e32 v9, 5, v67
	v_sub_nc_u32_e32 v55, v3, v66
	s_mov_b32 s61, exec_lo
	v_sub_nc_u32_e32 v9, v115, v9
	v_ashrrev_i32_e32 v67, 31, v55
	v_ashrrev_i32_e32 v54, 31, v9
	v_lshrrev_b32_e32 v67, 23, v67
	v_lshrrev_b32_e32 v54, 27, v54
	v_add_nc_u32_e32 v41, v55, v67
	v_add_nc_u32_e32 v54, v9, v54
	v_and_b32_e32 v67, 0xfffffe00, v41
	v_ashrrev_i32_e32 v41, 9, v41
	v_and_b32_e32 v68, 0xffffffe0, v54
	v_sub_nc_u32_e32 v69, v55, v67
	v_ashrrev_i32_e32 v42, 5, v54
	v_sub_nc_u32_e32 v68, v9, v68
	v_cmp_lt_i32_e32 vcc_lo, 15, v69
	v_lshlrev_b32_e32 v9, 4, v68
	v_add_co_ci_u32_e64 v41, null, 0, v41, vcc_lo
	v_lshl_add_u32 v54, v42, 9, v9
	v_sub_nc_u32_e32 v41, v41, v42
	v_sub_nc_u32_e32 v9, v55, v54
	v_cmpx_lt_i32_e32 15, v9
	s_cbranch_execz .LBB2_137
; %bb.134:                              ;   in Loop: Header=BB2_57 Depth=2
	v_add_nc_u32_e32 v54, v54, v66
	s_mov_b32 s62, 0
	v_ashrrev_i32_e32 v55, 31, v54
	.p2align	6
.LBB2_135:                              ;   Parent Loop BB2_47 Depth=1
                                        ;     Parent Loop BB2_57 Depth=2
                                        ; =>    This Inner Loop Header: Depth=3
	v_add_co_u32 v42, s16, v50, v54
	v_add_co_ci_u32_e64 v43, null, v51, v55, s16
	v_sub_nc_u32_e32 v9, v9, v97
	v_add_co_u32 v46, s16, v52, v54
	global_load_dwordx4 v[42:45], v[42:43], off slc
	v_add_co_ci_u32_e64 v47, null, v53, v55, s16
	v_cmp_gt_i32_e64 s16, 16, v9
	v_add_co_u32 v54, s17, v54, v97
	v_sub_nc_u32_e32 v41, v41, v81
	v_add_co_ci_u32_e64 v55, null, 0, v55, s17
	s_or_b32 s62, s16, s62
	s_waitcnt vmcnt(0)
	global_store_dwordx4 v[46:47], v[42:45], off glc slc
	s_andn2_b32 exec_lo, exec_lo, s62
	s_cbranch_execnz .LBB2_135
; %bb.136:                              ;   in Loop: Header=BB2_57 Depth=2
	s_or_b32 exec_lo, exec_lo, s62
.LBB2_137:                              ;   in Loop: Header=BB2_57 Depth=2
	s_or_b32 exec_lo, exec_lo, s61
	v_and_b32_e32 v43, 15, v3
	v_mov_b32_e32 v9, 0
	s_mov_b32 s17, 0
	s_mov_b32 s61, exec_lo
                                        ; implicit-def: $vgpr55
                                        ; implicit-def: $vgpr42
	v_cndmask_b32_e32 v54, v69, v43, vcc_lo
	v_cmpx_ne_u32_e32 0, v54
	s_cbranch_execz .LBB2_139
; %bb.138:                              ;   in Loop: Header=BB2_57 Depth=2
	v_cmp_lt_i32_e64 s16, 0, v41
	s_mov_b32 s17, exec_lo
	v_cndmask_b32_e64 v9, 0, v81, s16
	v_sub_nc_u32_e32 v9, v9, v41
	v_lshl_add_u32 v55, v9, 5, v68
	v_sub_nc_u32_e32 v68, v69, v43
	v_ashrrev_i32_e32 v9, 31, v55
	v_cndmask_b32_e32 v68, 0, v68, vcc_lo
	v_lshrrev_b32_e32 v9, 27, v9
	v_add_nc_u32_e32 v69, v55, v9
	v_add3_u32 v9, v67, v66, v68
	v_ashrrev_i32_e32 v42, 5, v69
.LBB2_139:                              ;   in Loop: Header=BB2_57 Depth=2
	s_or_b32 exec_lo, exec_lo, s61
	s_and_b32 s16, s17, exec_lo
.LBB2_140:                              ;   in Loop: Header=BB2_57 Depth=2
	s_or_b32 exec_lo, exec_lo, s23
	s_and_saveexec_b32 s17, s16
	s_cbranch_execz .LBB2_149
.LBB2_141:                              ;   in Loop: Header=BB2_57 Depth=2
	v_ashrrev_i32_e32 v66, 31, v54
	v_ashrrev_i32_e32 v67, 31, v55
	s_mov_b32 s16, exec_lo
	v_add_nc_u32_sdwa v66, v54, v66 dst_sel:DWORD dst_unused:UNUSED_PAD src0_sel:DWORD src1_sel:BYTE_3
	v_lshrrev_b32_e32 v67, 27, v67
	v_ashrrev_i32_e32 v68, 8, v66
	v_sub_nc_u32_e32 v66, v68, v42
	v_cmpx_lt_i32_e32 0, v66
	s_cbranch_execz .LBB2_145
; %bb.142:                              ;   in Loop: Header=BB2_57 Depth=2
	v_add_nc_u32_e32 v69, v55, v67
	v_lshlrev_b32_e32 v41, 8, v42
	s_mov_b32 s23, 0
	v_and_b32_e32 v69, 0xffffffe0, v69
	v_sub_nc_u32_e32 v69, v55, v69
	v_add3_u32 v69, v9, v69, v41
	v_ashrrev_i32_e32 v41, 31, v69
.LBB2_143:                              ;   Parent Loop BB2_47 Depth=1
                                        ;     Parent Loop BB2_57 Depth=2
                                        ; =>    This Inner Loop Header: Depth=3
	v_add_co_u32 v42, vcc_lo, v69, v50
	v_add_co_ci_u32_e64 v43, null, v41, v51, vcc_lo
	v_sub_nc_u32_e32 v66, v66, v81
	s_clause 0x7
	flat_load_ubyte v44, v[42:43] slc
	flat_load_ubyte v45, v[42:43] offset:32 slc
	flat_load_ubyte v46, v[42:43] offset:64 slc
	;; [unrolled: 1-line block ×7, first 2 shown]
	v_add_co_u32 v42, vcc_lo, v69, v52
	v_add_co_ci_u32_e64 v43, null, v41, v53, vcc_lo
	v_add_co_u32 v50, vcc_lo, v50, v98
	v_add_co_ci_u32_e64 v51, null, 0, v51, vcc_lo
	;; [unrolled: 2-line block ×3, first 2 shown]
	v_cmp_gt_i32_e32 vcc_lo, 1, v66
	s_waitcnt vmcnt(7) lgkmcnt(7)
	flat_store_byte v[42:43], v44 glc slc
	s_waitcnt vmcnt(6) lgkmcnt(7)
	flat_store_byte v[42:43], v45 offset:32 glc slc
	s_waitcnt vmcnt(5) lgkmcnt(7)
	flat_store_byte v[42:43], v46 offset:64 glc slc
	;; [unrolled: 2-line block ×7, first 2 shown]
	s_or_b32 s23, vcc_lo, s23
	s_andn2_b32 exec_lo, exec_lo, s23
	s_cbranch_execnz .LBB2_143
; %bb.144:                              ;   in Loop: Header=BB2_57 Depth=2
	s_or_b32 exec_lo, exec_lo, s23
.LBB2_145:                              ;   in Loop: Header=BB2_57 Depth=2
	s_or_b32 exec_lo, exec_lo, s16
	v_lshlrev_b32_e32 v50, 8, v68
	v_cmp_ne_u32_e32 vcc_lo, v54, v50
	s_and_b32 exec_lo, exec_lo, vcc_lo
	s_cbranch_execz .LBB2_149
; %bb.146:                              ;   in Loop: Header=BB2_57 Depth=2
	v_add_nc_u32_e32 v51, v55, v67
	v_lshlrev_b32_e32 v52, 5, v66
	v_and_b32_e32 v51, 0xffffffe0, v51
	v_sub_nc_u32_e32 v51, v55, v51
	v_sub_nc_u32_e32 v51, v51, v52
	v_add_nc_u32_e32 v53, v50, v51
	v_sub_nc_u32_e32 v52, v54, v53
	v_cmp_lt_i32_e32 vcc_lo, 0, v52
	s_and_b32 exec_lo, exec_lo, vcc_lo
	s_cbranch_execz .LBB2_149
; %bb.147:                              ;   in Loop: Header=BB2_57 Depth=2
	s_trap 2
	ds_read_b64 v[50:51], v0
	v_add_nc_u32_e32 v9, v53, v9
	s_mov_b32 s23, 0
	v_ashrrev_i32_e32 v53, 31, v9
	.p2align	6
.LBB2_148:                              ;   Parent Loop BB2_47 Depth=1
                                        ;     Parent Loop BB2_57 Depth=2
                                        ; =>    This Inner Loop Header: Depth=3
	s_waitcnt lgkmcnt(0)
	v_add_co_u32 v54, vcc_lo, v50, v9
	v_add_co_ci_u32_e64 v55, null, v51, v53, vcc_lo
	v_sub_nc_u32_e32 v52, v52, v82
	v_add_co_u32 v9, s16, v9, v82
	flat_load_ubyte v66, v[54:55] slc
	v_add_co_ci_u32_e64 v53, null, 0, v53, s16
	v_cmp_gt_i32_e32 vcc_lo, 1, v52
	s_or_b32 s23, vcc_lo, s23
	s_waitcnt vmcnt(0) lgkmcnt(0)
	flat_store_byte v[54:55], v66 glc slc
	s_andn2_b32 exec_lo, exec_lo, s23
	s_cbranch_execnz .LBB2_148
.LBB2_149:                              ;   in Loop: Header=BB2_57 Depth=2
	s_or_b32 exec_lo, exec_lo, s17
	v_cmp_lt_i32_e64 s16, 0, v3
	s_and_saveexec_b32 s17, s6
	s_cbranch_execz .LBB2_168
.LBB2_150:                              ;   in Loop: Header=BB2_57 Depth=2
	s_and_saveexec_b32 s23, s29
	s_xor_b32 s23, exec_lo, s23
	s_cbranch_execz .LBB2_165
; %bb.151:                              ;   in Loop: Header=BB2_57 Depth=2
	s_and_saveexec_b32 s61, s11
	s_cbranch_execz .LBB2_164
; %bb.152:                              ;   in Loop: Header=BB2_57 Depth=2
	s_mov_b32 s63, exec_lo
	s_mov_b32 s62, exec_lo
	v_mbcnt_lo_u32_b32 v3, s63, 0
	s_waitcnt vmcnt(0) lgkmcnt(0)
	s_waitcnt_vscnt null, 0x0
	buffer_gl1_inv
	buffer_gl0_inv
	v_cmpx_eq_u32_e32 0, v3
	s_cbranch_execz .LBB2_154
; %bb.153:                              ;   in Loop: Header=BB2_57 Depth=2
	s_bcnt1_i32_b32 s63, s63
	v_mov_b32_e32 v51, v2
	v_mov_b32_e32 v50, s63
	ds_add_u64 v0, v[50:51]
	s_trap 2
.LBB2_154:                              ;   in Loop: Header=BB2_57 Depth=2
	s_or_b32 exec_lo, exec_lo, s62
	s_trap 2
	ds_read_b64 v[50:51], v0
	s_waitcnt lgkmcnt(0)
	buffer_gl0_inv
	v_add_co_u32 v12, vcc_lo, v12, v81
	v_add_co_ci_u32_e64 v13, null, 0, v13, vcc_lo
	s_mov_b32 s62, exec_lo
	v_cmpx_lt_u64_e64 v[50:51], v[12:13]
	s_cbranch_execz .LBB2_163
; %bb.155:                              ;   in Loop: Header=BB2_57 Depth=2
	s_mov_b32 s63, 0
	s_mov_b32 s74, 0
                                        ; implicit-def: $sgpr72
                                        ; implicit-def: $sgpr73
	s_inst_prefetch 0x1
	s_branch .LBB2_157
	.p2align	6
.LBB2_156:                              ;   in Loop: Header=BB2_157 Depth=3
	s_or_b32 exec_lo, exec_lo, s76
	s_and_b32 s75, exec_lo, s77
	s_or_b32 s63, s75, s63
	s_andn2_b32 s72, s72, exec_lo
	s_and_b32 s75, s73, exec_lo
	s_or_b32 s72, s72, s75
	s_andn2_b32 exec_lo, exec_lo, s63
	s_cbranch_execz .LBB2_161
.LBB2_157:                              ;   Parent Loop BB2_47 Depth=1
                                        ;     Parent Loop BB2_57 Depth=2
                                        ; =>    This Inner Loop Header: Depth=3
	s_add_i32 s74, s74, 1
	s_cmpk_lg_i32 s74, 0x2710
	s_cselect_b32 s75, -1, 0
	s_and_b32 vcc_lo, exec_lo, s75
	s_cbranch_vccz .LBB2_159
; %bb.158:                              ;   in Loop: Header=BB2_157 Depth=3
	s_mov_b32 s77, -1
	s_or_b32 s73, s73, exec_lo
	s_and_saveexec_b32 s76, s75
	s_cbranch_execz .LBB2_156
	s_branch .LBB2_160
	.p2align	6
.LBB2_159:                              ;   in Loop: Header=BB2_157 Depth=3
	s_trap 2
	ds_read_b64 v[50:51], v0
	s_andn2_b32 s75, s75, exec_lo
	s_mov_b32 s74, 0
	s_waitcnt lgkmcnt(0)
	flat_load_dword v3, v[50:51] glc dlc
	s_waitcnt vmcnt(0) lgkmcnt(0)
	buffer_gl1_inv
	buffer_gl0_inv
	v_cmp_eq_u32_e32 vcc_lo, 0, v3
	s_and_b32 s76, vcc_lo, exec_lo
	s_or_b32 s75, s75, s76
	s_mov_b32 s77, -1
	s_or_b32 s73, s73, exec_lo
	s_and_saveexec_b32 s76, s75
	s_cbranch_execz .LBB2_156
.LBB2_160:                              ;   in Loop: Header=BB2_157 Depth=3
	s_sleep 1
	s_trap 2
	ds_read_b64 v[50:51], v0
	s_waitcnt lgkmcnt(0)
	buffer_gl0_inv
	s_andn2_b32 s73, s73, exec_lo
	v_cmp_ge_u64_e32 vcc_lo, v[50:51], v[12:13]
	s_orn2_b32 s77, vcc_lo, exec_lo
	s_branch .LBB2_156
.LBB2_161:                              ;   in Loop: Header=BB2_57 Depth=2
	s_inst_prefetch 0x2
	s_or_b32 exec_lo, exec_lo, s63
	s_and_saveexec_b32 s63, s72
	s_xor_b32 s63, exec_lo, s63
	s_cbranch_execz .LBB2_163
; %bb.162:                              ;   in Loop: Header=BB2_57 Depth=2
	ds_write_b32 v0, v84
	s_trap 2
.LBB2_163:                              ;   in Loop: Header=BB2_57 Depth=2
	s_or_b32 exec_lo, exec_lo, s62
	;;#ASMSTART
	s_wakeup
	;;#ASMEND
.LBB2_164:                              ;   in Loop: Header=BB2_57 Depth=2
	s_or_b32 exec_lo, exec_lo, s61
.LBB2_165:                              ;   in Loop: Header=BB2_57 Depth=2
	s_andn2_saveexec_b32 s23, s23
	s_cbranch_execz .LBB2_167
; %bb.166:                              ;   in Loop: Header=BB2_57 Depth=2
	s_waitcnt vmcnt(0) lgkmcnt(0)
	s_waitcnt_vscnt null, 0x0
	buffer_gl1_inv
	buffer_gl0_inv
	s_barrier
.LBB2_167:                              ;   in Loop: Header=BB2_57 Depth=2
	s_or_b32 exec_lo, exec_lo, s23
.LBB2_168:                              ;   in Loop: Header=BB2_57 Depth=2
	s_or_b32 exec_lo, exec_lo, s17
	v_and_b32_e32 v3, 16, v71
	s_and_saveexec_b32 s17, s12
	s_xor_b32 s17, exec_lo, s17
	s_cbranch_execz .LBB2_172
; %bb.169:                              ;   in Loop: Header=BB2_57 Depth=2
	v_and_b32_e32 v3, 16, v71
	v_cmp_ne_u32_e32 vcc_lo, 0, v3
	v_and_b32_e32 v3, 16, v71
	s_and_b32 s23, vcc_lo, s16
	s_and_saveexec_b32 s16, s23
	s_cbranch_execz .LBB2_171
; %bb.170:                              ;   in Loop: Header=BB2_57 Depth=2
	v_mov_b32_e32 v3, 1
	s_waitcnt vmcnt(0) lgkmcnt(0)
	s_waitcnt_vscnt null, 0x0
	buffer_gl1_inv
	buffer_gl0_inv
.LBB2_171:                              ;   in Loop: Header=BB2_57 Depth=2
	s_or_b32 exec_lo, exec_lo, s16
.LBB2_172:                              ;   in Loop: Header=BB2_57 Depth=2
	s_andn2_saveexec_b32 s16, s17
	s_cbranch_execz .LBB2_191
; %bb.173:                              ;   in Loop: Header=BB2_57 Depth=2
	s_and_saveexec_b32 s17, s29
	s_xor_b32 s17, exec_lo, s17
	s_cbranch_execz .LBB2_188
; %bb.174:                              ;   in Loop: Header=BB2_57 Depth=2
	s_and_saveexec_b32 s23, s11
	s_cbranch_execz .LBB2_187
; %bb.175:                              ;   in Loop: Header=BB2_57 Depth=2
	s_mov_b32 s62, exec_lo
	s_mov_b32 s61, exec_lo
	v_mbcnt_lo_u32_b32 v9, s62, 0
	;;#ASMSTART
	s_waitcnt lgkmcnt(0) vmcnt(0)
	;;#ASMEND
	v_cmpx_eq_u32_e32 0, v9
	s_cbranch_execz .LBB2_177
; %bb.176:                              ;   in Loop: Header=BB2_57 Depth=2
	s_bcnt1_i32_b32 s62, s62
	v_mov_b32_e32 v51, v2
	v_mov_b32_e32 v50, s62
	s_waitcnt vmcnt(0) lgkmcnt(0)
	s_waitcnt_vscnt null, 0x0
	ds_add_u64 v0, v[50:51]
	s_trap 2
.LBB2_177:                              ;   in Loop: Header=BB2_57 Depth=2
	s_or_b32 exec_lo, exec_lo, s61
	s_trap 2
	ds_read_b64 v[50:51], v0
	s_waitcnt vmcnt(0) lgkmcnt(0)
	buffer_gl0_inv
	v_add_co_u32 v12, vcc_lo, v12, v81
	v_add_co_ci_u32_e64 v13, null, 0, v13, vcc_lo
	s_mov_b32 s61, exec_lo
	v_cmpx_lt_u64_e64 v[50:51], v[12:13]
	s_cbranch_execz .LBB2_186
; %bb.178:                              ;   in Loop: Header=BB2_57 Depth=2
	s_mov_b32 s62, 0
	s_mov_b32 s73, 0
                                        ; implicit-def: $sgpr63
                                        ; implicit-def: $sgpr72
	s_inst_prefetch 0x1
	s_branch .LBB2_180
	.p2align	6
.LBB2_179:                              ;   in Loop: Header=BB2_180 Depth=3
	s_or_b32 exec_lo, exec_lo, s75
	s_and_b32 s74, exec_lo, s76
	s_or_b32 s62, s74, s62
	s_andn2_b32 s63, s63, exec_lo
	s_and_b32 s74, s72, exec_lo
	s_or_b32 s63, s63, s74
	s_andn2_b32 exec_lo, exec_lo, s62
	s_cbranch_execz .LBB2_184
.LBB2_180:                              ;   Parent Loop BB2_47 Depth=1
                                        ;     Parent Loop BB2_57 Depth=2
                                        ; =>    This Inner Loop Header: Depth=3
	s_add_i32 s73, s73, 1
	s_cmpk_lg_i32 s73, 0x2710
	s_cselect_b32 s74, -1, 0
	s_and_b32 vcc_lo, exec_lo, s74
	s_cbranch_vccz .LBB2_182
; %bb.181:                              ;   in Loop: Header=BB2_180 Depth=3
	s_mov_b32 s76, -1
	s_or_b32 s72, s72, exec_lo
	s_and_saveexec_b32 s75, s74
	s_cbranch_execz .LBB2_179
	s_branch .LBB2_183
	.p2align	6
.LBB2_182:                              ;   in Loop: Header=BB2_180 Depth=3
	s_trap 2
	ds_read_b64 v[50:51], v0
	s_andn2_b32 s74, s74, exec_lo
	s_mov_b32 s73, 0
	s_waitcnt lgkmcnt(0)
	s_waitcnt_vscnt null, 0x0
	flat_load_dword v9, v[50:51] glc dlc
	s_waitcnt vmcnt(0) lgkmcnt(0)
	buffer_gl1_inv
	buffer_gl0_inv
	v_cmp_eq_u32_e32 vcc_lo, 0, v9
	s_and_b32 s75, vcc_lo, exec_lo
	s_or_b32 s74, s74, s75
	s_mov_b32 s76, -1
	s_or_b32 s72, s72, exec_lo
	s_and_saveexec_b32 s75, s74
	s_cbranch_execz .LBB2_179
.LBB2_183:                              ;   in Loop: Header=BB2_180 Depth=3
	s_sleep 1
	s_trap 2
	ds_read_b64 v[50:51], v0
	s_waitcnt lgkmcnt(0)
	buffer_gl0_inv
	s_andn2_b32 s72, s72, exec_lo
	v_cmp_ge_u64_e32 vcc_lo, v[50:51], v[12:13]
	s_orn2_b32 s76, vcc_lo, exec_lo
	s_branch .LBB2_179
.LBB2_184:                              ;   in Loop: Header=BB2_57 Depth=2
	s_inst_prefetch 0x2
	s_or_b32 exec_lo, exec_lo, s62
	s_and_saveexec_b32 s62, s63
	s_xor_b32 s62, exec_lo, s62
	s_cbranch_execz .LBB2_186
; %bb.185:                              ;   in Loop: Header=BB2_57 Depth=2
	ds_write_b32 v0, v84
	s_trap 2
.LBB2_186:                              ;   in Loop: Header=BB2_57 Depth=2
	s_or_b32 exec_lo, exec_lo, s61
	;;#ASMSTART
	s_wakeup
	;;#ASMEND
.LBB2_187:                              ;   in Loop: Header=BB2_57 Depth=2
	s_or_b32 exec_lo, exec_lo, s23
.LBB2_188:                              ;   in Loop: Header=BB2_57 Depth=2
	s_andn2_saveexec_b32 s17, s17
	s_cbranch_execz .LBB2_190
; %bb.189:                              ;   in Loop: Header=BB2_57 Depth=2
	;;#ASMSTART
	s_waitcnt lgkmcnt(0) vmcnt(0)
	;;#ASMEND
	s_barrier
.LBB2_190:                              ;   in Loop: Header=BB2_57 Depth=2
	s_or_b32 exec_lo, exec_lo, s17
.LBB2_191:                              ;   in Loop: Header=BB2_57 Depth=2
	s_or_b32 exec_lo, exec_lo, s16
	s_mov_b32 s16, exec_lo
	v_cmpx_ne_u32_e32 0, v3
	s_cbranch_execz .LBB2_56
; %bb.192:                              ;   in Loop: Header=BB2_57 Depth=2
	s_and_saveexec_b32 s17, s10
	s_cbranch_execz .LBB2_55
; %bb.193:                              ;   in Loop: Header=BB2_57 Depth=2
	s_waitcnt vmcnt(0) lgkmcnt(0)
	s_waitcnt_vscnt null, 0x0
	flat_store_dword v[24:25], v84
	s_branch .LBB2_55
.LBB2_194:                              ;   in Loop: Header=BB2_47 Depth=1
	s_or_b32 exec_lo, exec_lo, s19
.LBB2_195:                              ;   in Loop: Header=BB2_47 Depth=1
	s_or_b32 exec_lo, exec_lo, s18
	s_mov_b32 s17, exec_lo
	v_cmpx_gt_i32_e32 2, v3
	s_cbranch_execz .LBB2_267
; %bb.196:                              ;   in Loop: Header=BB2_47 Depth=1
	v_cmp_eq_u32_e64 s19, 0, v3
	s_mov_b32 s18, 0
	s_branch .LBB2_199
.LBB2_197:                              ;   in Loop: Header=BB2_199 Depth=2
	s_or_b32 exec_lo, exec_lo, s19
	v_add_co_u32 v38, vcc_lo, v38, 2
	v_add_co_ci_u32_e64 v39, null, 0, v39, vcc_lo
	s_waitcnt vmcnt(0) lgkmcnt(0)
	s_waitcnt_vscnt null, 0x0
	flat_store_dwordx2 v[20:21], v[38:39]
.LBB2_198:                              ;   in Loop: Header=BB2_199 Depth=2
	s_or_b32 exec_lo, exec_lo, s16
	v_add_nc_u32_e32 v65, v8, v65
	s_mov_b32 s19, 0
	s_andn2_b32 exec_lo, exec_lo, s18
	s_cbranch_execz .LBB2_266
.LBB2_199:                              ;   Parent Loop BB2_47 Depth=1
                                        ; =>  This Loop Header: Depth=2
                                        ;       Child Loop BB2_205 Depth 3
                                        ;       Child Loop BB2_229 Depth 3
	;; [unrolled: 1-line block ×3, first 2 shown]
	v_sub_nc_u32_e32 v3, v64, v65
	v_and_b32_e32 v9, 8, v71
	s_mov_b32 s21, exec_lo
	v_min_i32_e32 v8, v8, v3
	v_cmpx_ne_u32_e32 0, v9
	s_cbranch_execz .LBB2_221
; %bb.200:                              ;   in Loop: Header=BB2_199 Depth=2
	s_waitcnt vmcnt(0) lgkmcnt(1)
	v_add_co_u32 v50, vcc_lo, v26, 8
	v_add_co_ci_u32_e64 v51, null, 0, v27, vcc_lo
	v_add_co_u32 v10, vcc_lo, v38, 2
	v_add_co_ci_u32_e64 v11, null, 0, v39, vcc_lo
	s_mov_b32 s22, exec_lo
	v_cmpx_lt_u64_e64 v[50:51], v[10:11]
	s_cbranch_execz .LBB2_212
; %bb.201:                              ;   in Loop: Header=BB2_199 Depth=2
	v_and_b32_e32 v3, 64, v71
	s_mov_b32 s23, 0
	s_mov_b32 s72, 0
                                        ; implicit-def: $sgpr61
                                        ; implicit-def: $sgpr62
                                        ; implicit-def: $sgpr63
	v_cmp_eq_u32_e32 vcc_lo, 0, v3
	s_branch .LBB2_205
.LBB2_202:                              ;   in Loop: Header=BB2_205 Depth=3
	s_waitcnt vmcnt(0) lgkmcnt(0)
	v_add_co_u32 v50, s16, v26, 8
	v_add_co_ci_u32_e64 v51, null, 0, v27, s16
	s_or_b32 s75, s75, exec_lo
	v_cmp_ge_u64_e64 s16, v[50:51], v[10:11]
	s_orn2_b32 s74, s16, exec_lo
.LBB2_203:                              ;   in Loop: Header=BB2_205 Depth=3
	s_or_b32 exec_lo, exec_lo, s77
	s_andn2_b32 s16, s63, exec_lo
	s_and_b32 s63, s75, exec_lo
	s_andn2_b32 s62, s62, exec_lo
	s_and_b32 s74, s74, exec_lo
	s_or_b32 s63, s16, s63
	s_or_b32 s62, s62, s74
.LBB2_204:                              ;   in Loop: Header=BB2_205 Depth=3
	s_or_b32 exec_lo, exec_lo, s73
	s_and_b32 s16, exec_lo, s62
	s_or_b32 s23, s16, s23
	s_andn2_b32 s16, s61, exec_lo
	s_and_b32 s61, s63, exec_lo
	s_or_b32 s61, s16, s61
	s_andn2_b32 exec_lo, exec_lo, s23
	s_cbranch_execz .LBB2_209
.LBB2_205:                              ;   Parent Loop BB2_47 Depth=1
                                        ;     Parent Loop BB2_199 Depth=2
                                        ; =>    This Inner Loop Header: Depth=3
	s_sleep 1
	s_waitcnt vmcnt(0) lgkmcnt(0)
	flat_load_dwordx2 v[26:27], v[20:21] glc dlc
	s_or_b32 s63, s63, exec_lo
	s_or_b32 s62, s62, exec_lo
                                        ; implicit-def: $vgpr3
	s_and_saveexec_b32 s73, vcc_lo
	s_cbranch_execz .LBB2_204
; %bb.206:                              ;   in Loop: Header=BB2_205 Depth=3
	s_cmpk_lt_i32 s72, 0x270f
	s_mov_b32 s74, -1
	s_cselect_b32 s76, -1, 0
	s_cmpk_gt_i32 s72, 0x270e
	s_cbranch_scc0 .LBB2_208
; %bb.207:                              ;   in Loop: Header=BB2_205 Depth=3
	s_trap 2
	ds_read_b64 v[50:51], v0
	s_andn2_b32 s72, s76, exec_lo
	s_mov_b32 s75, 0
	s_waitcnt vmcnt(0) lgkmcnt(0)
	s_waitcnt_vscnt null, 0x0
	flat_load_dword v3, v[50:51] glc dlc
	s_waitcnt vmcnt(0) lgkmcnt(0)
	buffer_gl1_inv
	buffer_gl0_inv
	v_cmp_eq_u32_e64 s16, 0, v3
	s_and_b32 s16, s16, exec_lo
	s_or_b32 s76, s72, s16
	s_mov_b32 s72, 0
	s_and_saveexec_b32 s77, s76
	s_cbranch_execz .LBB2_203
	s_branch .LBB2_202
.LBB2_208:                              ;   in Loop: Header=BB2_205 Depth=3
	s_add_i32 s72, s72, 1
	s_mov_b32 s75, -1
                                        ; implicit-def: $vgpr3
	s_and_saveexec_b32 s77, s76
	s_cbranch_execz .LBB2_203
	s_branch .LBB2_202
.LBB2_209:                              ;   in Loop: Header=BB2_199 Depth=2
	s_or_b32 exec_lo, exec_lo, s23
	s_xor_b32 s16, s61, -1
	s_and_saveexec_b32 s23, s16
	s_xor_b32 s16, exec_lo, s23
	s_cbranch_execz .LBB2_211
; %bb.210:                              ;   in Loop: Header=BB2_199 Depth=2
	v_or_b32_e32 v71, 64, v71
	s_waitcnt vmcnt(0) lgkmcnt(0)
	s_waitcnt_vscnt null, 0x0
	ds_write_b32 v0, v3
	s_trap 2
.LBB2_211:                              ;   in Loop: Header=BB2_199 Depth=2
	s_or_b32 exec_lo, exec_lo, s16
.LBB2_212:                              ;   in Loop: Header=BB2_199 Depth=2
	s_or_b32 exec_lo, exec_lo, s22
	v_and_b32_e32 v3, 0x100, v71
	s_mov_b32 s16, -1
	;;#ASMSTART
	s_wakeup
	;;#ASMEND
	v_cmp_ne_u32_e32 vcc_lo, 0, v3
	v_and_b32_e32 v3, 7, v38
                                        ; implicit-def: $vgpr38_vgpr39
	s_and_saveexec_b32 s22, vcc_lo
	s_cbranch_execz .LBB2_216
; %bb.213:                              ;   in Loop: Header=BB2_199 Depth=2
	v_mad_u64_u32 v[50:51], null, v3, 24, v[6:7]
	v_ashrrev_i32_e32 v9, 31, v8
	flat_load_dword v38, v[50:51]
	flat_store_dwordx2 v[50:51], v[8:9] offset:8
	s_waitcnt vmcnt(0) lgkmcnt(1)
	v_cmp_eq_u32_e64 s16, 1, v38
	v_cmp_ne_u32_e32 vcc_lo, 1, v38
                                        ; implicit-def: $vgpr38_vgpr39
	s_and_saveexec_b32 s23, s16
	s_cbranch_execz .LBB2_215
; %bb.214:                              ;   in Loop: Header=BB2_199 Depth=2
	flat_load_dword v38, v[50:51] offset:4 glc dlc
	s_waitcnt vmcnt(0) lgkmcnt(0)
	v_ashrrev_i32_e32 v39, 31, v38
.LBB2_215:                              ;   in Loop: Header=BB2_199 Depth=2
	s_or_b32 exec_lo, exec_lo, s23
	s_orn2_b32 s16, vcc_lo, exec_lo
.LBB2_216:                              ;   in Loop: Header=BB2_199 Depth=2
	s_or_b32 exec_lo, exec_lo, s22
	s_and_saveexec_b32 s22, s16
; %bb.217:                              ;   in Loop: Header=BB2_199 Depth=2
	v_mad_i64_i32 v[38:39], null, v3, v80, 0
; %bb.218:                              ;   in Loop: Header=BB2_199 Depth=2
	s_or_b32 exec_lo, exec_lo, s22
	v_add_co_u32 v38, vcc_lo, v22, v38
	v_and_b32_e32 v3, 0x2000, v71
	v_add_co_ci_u32_e64 v39, null, v23, v39, vcc_lo
	s_mov_b32 s16, exec_lo
	ds_write_b64 v0, v[38:39] offset:784
	v_cmpx_ne_u32_e32 0, v3
	s_cbranch_execz .LBB2_220
; %bb.219:                              ;   in Loop: Header=BB2_199 Depth=2
	ds_read_b64 v[38:39], v0 offset:872
	s_waitcnt lgkmcnt(0)
	v_add_co_u32 v38, vcc_lo, v38, 1
	v_add_co_ci_u32_e64 v39, null, 0, v39, vcc_lo
	ds_write_b64 v0, v[38:39] offset:872
.LBB2_220:                              ;   in Loop: Header=BB2_199 Depth=2
	s_or_b32 exec_lo, exec_lo, s16
	v_mov_b32_e32 v39, v11
	v_mov_b32_e32 v38, v10
.LBB2_221:                              ;   in Loop: Header=BB2_199 Depth=2
	s_or_b32 exec_lo, exec_lo, s21
	s_xor_b32 s16, s19, -1
	s_and_b32 s16, exec_lo, s16
	s_or_b32 s18, s16, s18
	s_and_saveexec_b32 s16, s6
	s_cbranch_execz .LBB2_240
; %bb.222:                              ;   in Loop: Header=BB2_199 Depth=2
	s_and_saveexec_b32 s19, s29
	s_xor_b32 s19, exec_lo, s19
	s_cbranch_execz .LBB2_237
; %bb.223:                              ;   in Loop: Header=BB2_199 Depth=2
	s_and_saveexec_b32 s21, s11
	s_cbranch_execz .LBB2_236
; %bb.224:                              ;   in Loop: Header=BB2_199 Depth=2
	s_mov_b32 s23, exec_lo
	s_mov_b32 s22, exec_lo
	v_mbcnt_lo_u32_b32 v3, s23, 0
	s_waitcnt vmcnt(0) lgkmcnt(0)
	s_waitcnt_vscnt null, 0x0
	buffer_gl1_inv
	buffer_gl0_inv
	v_cmpx_eq_u32_e32 0, v3
	s_cbranch_execz .LBB2_226
; %bb.225:                              ;   in Loop: Header=BB2_199 Depth=2
	s_bcnt1_i32_b32 s23, s23
	v_mov_b32_e32 v10, v2
	v_mov_b32_e32 v9, s23
	ds_add_u64 v0, v[9:10]
	s_trap 2
.LBB2_226:                              ;   in Loop: Header=BB2_199 Depth=2
	s_or_b32 exec_lo, exec_lo, s22
	s_trap 2
	ds_read_b64 v[9:10], v0
	s_waitcnt lgkmcnt(0)
	buffer_gl0_inv
	v_add_co_u32 v12, vcc_lo, v12, v81
	v_add_co_ci_u32_e64 v13, null, 0, v13, vcc_lo
	s_mov_b32 s22, exec_lo
	v_cmpx_lt_u64_e64 v[9:10], v[12:13]
	s_cbranch_execz .LBB2_235
; %bb.227:                              ;   in Loop: Header=BB2_199 Depth=2
	s_mov_b32 s23, 0
	s_mov_b32 s63, 0
                                        ; implicit-def: $sgpr61
                                        ; implicit-def: $sgpr62
	s_inst_prefetch 0x1
	s_branch .LBB2_229
	.p2align	6
.LBB2_228:                              ;   in Loop: Header=BB2_229 Depth=3
	s_or_b32 exec_lo, exec_lo, s73
	s_and_b32 s72, exec_lo, s74
	s_or_b32 s23, s72, s23
	s_andn2_b32 s61, s61, exec_lo
	s_and_b32 s72, s62, exec_lo
	s_or_b32 s61, s61, s72
	s_andn2_b32 exec_lo, exec_lo, s23
	s_cbranch_execz .LBB2_233
.LBB2_229:                              ;   Parent Loop BB2_47 Depth=1
                                        ;     Parent Loop BB2_199 Depth=2
                                        ; =>    This Inner Loop Header: Depth=3
	s_add_i32 s63, s63, 1
	s_cmpk_lg_i32 s63, 0x2710
	s_cselect_b32 s72, -1, 0
	s_and_b32 vcc_lo, exec_lo, s72
	s_cbranch_vccz .LBB2_231
; %bb.230:                              ;   in Loop: Header=BB2_229 Depth=3
	s_mov_b32 s74, -1
	s_or_b32 s62, s62, exec_lo
	s_and_saveexec_b32 s73, s72
	s_cbranch_execz .LBB2_228
	s_branch .LBB2_232
	.p2align	6
.LBB2_231:                              ;   in Loop: Header=BB2_229 Depth=3
	s_trap 2
	ds_read_b64 v[9:10], v0
	s_andn2_b32 s72, s72, exec_lo
	s_mov_b32 s63, 0
	s_waitcnt lgkmcnt(0)
	flat_load_dword v3, v[9:10] glc dlc
	s_waitcnt vmcnt(0) lgkmcnt(0)
	buffer_gl1_inv
	buffer_gl0_inv
	v_cmp_eq_u32_e32 vcc_lo, 0, v3
	s_and_b32 s73, vcc_lo, exec_lo
	s_or_b32 s72, s72, s73
	s_mov_b32 s74, -1
	s_or_b32 s62, s62, exec_lo
	s_and_saveexec_b32 s73, s72
	s_cbranch_execz .LBB2_228
.LBB2_232:                              ;   in Loop: Header=BB2_229 Depth=3
	s_sleep 1
	s_trap 2
	ds_read_b64 v[9:10], v0
	s_waitcnt lgkmcnt(0)
	buffer_gl0_inv
	s_andn2_b32 s62, s62, exec_lo
	v_cmp_ge_u64_e32 vcc_lo, v[9:10], v[12:13]
	s_orn2_b32 s74, vcc_lo, exec_lo
	s_branch .LBB2_228
.LBB2_233:                              ;   in Loop: Header=BB2_199 Depth=2
	s_inst_prefetch 0x2
	s_or_b32 exec_lo, exec_lo, s23
	s_and_saveexec_b32 s23, s61
	s_xor_b32 s23, exec_lo, s23
	s_cbranch_execz .LBB2_235
; %bb.234:                              ;   in Loop: Header=BB2_199 Depth=2
	ds_write_b32 v0, v84
	s_trap 2
.LBB2_235:                              ;   in Loop: Header=BB2_199 Depth=2
	s_or_b32 exec_lo, exec_lo, s22
	;;#ASMSTART
	s_wakeup
	;;#ASMEND
.LBB2_236:                              ;   in Loop: Header=BB2_199 Depth=2
	s_or_b32 exec_lo, exec_lo, s21
.LBB2_237:                              ;   in Loop: Header=BB2_199 Depth=2
	s_andn2_saveexec_b32 s19, s19
	s_cbranch_execz .LBB2_239
; %bb.238:                              ;   in Loop: Header=BB2_199 Depth=2
	s_waitcnt vmcnt(0) lgkmcnt(0)
	s_waitcnt_vscnt null, 0x0
	buffer_gl1_inv
	buffer_gl0_inv
	s_barrier
.LBB2_239:                              ;   in Loop: Header=BB2_199 Depth=2
	s_or_b32 exec_lo, exec_lo, s19
.LBB2_240:                              ;   in Loop: Header=BB2_199 Depth=2
	s_or_b32 exec_lo, exec_lo, s16
	v_and_b32_e32 v3, 16, v71
	s_and_saveexec_b32 s16, s12
	s_xor_b32 s19, exec_lo, s16
	s_cbranch_execz .LBB2_244
; %bb.241:                              ;   in Loop: Header=BB2_199 Depth=2
	s_trap 2
	ds_read_b32 v3, v0
	v_cmp_lt_i32_e32 vcc_lo, 0, v8
	s_waitcnt lgkmcnt(0)
	v_readfirstlane_b32 s16, v3
	v_and_b32_e32 v3, 16, v71
	s_cmp_eq_u32 s16, 0
	v_cmp_ne_u32_e64 s16, 0, v3
	s_cselect_b32 s21, -1, 0
	v_and_b32_e32 v3, 16, v71
	s_and_b32 s21, vcc_lo, s21
	s_and_b32 s21, s16, s21
	s_and_saveexec_b32 s16, s21
	s_cbranch_execz .LBB2_243
; %bb.242:                              ;   in Loop: Header=BB2_199 Depth=2
	v_mov_b32_e32 v3, 1
	s_waitcnt vmcnt(0)
	s_waitcnt_vscnt null, 0x0
	buffer_gl1_inv
	buffer_gl0_inv
.LBB2_243:                              ;   in Loop: Header=BB2_199 Depth=2
	s_or_b32 exec_lo, exec_lo, s16
.LBB2_244:                              ;   in Loop: Header=BB2_199 Depth=2
	s_andn2_saveexec_b32 s16, s19
	s_cbranch_execz .LBB2_263
; %bb.245:                              ;   in Loop: Header=BB2_199 Depth=2
	s_and_saveexec_b32 s19, s29
	s_xor_b32 s19, exec_lo, s19
	s_cbranch_execz .LBB2_260
; %bb.246:                              ;   in Loop: Header=BB2_199 Depth=2
	s_and_saveexec_b32 s21, s11
	s_cbranch_execz .LBB2_259
; %bb.247:                              ;   in Loop: Header=BB2_199 Depth=2
	s_mov_b32 s23, exec_lo
	s_mov_b32 s22, exec_lo
	v_mbcnt_lo_u32_b32 v9, s23, 0
	;;#ASMSTART
	s_waitcnt lgkmcnt(0) vmcnt(0)
	;;#ASMEND
	v_cmpx_eq_u32_e32 0, v9
	s_cbranch_execz .LBB2_249
; %bb.248:                              ;   in Loop: Header=BB2_199 Depth=2
	s_bcnt1_i32_b32 s23, s23
	v_mov_b32_e32 v10, v2
	v_mov_b32_e32 v9, s23
	s_waitcnt vmcnt(0) lgkmcnt(0)
	s_waitcnt_vscnt null, 0x0
	ds_add_u64 v0, v[9:10]
	s_trap 2
.LBB2_249:                              ;   in Loop: Header=BB2_199 Depth=2
	s_or_b32 exec_lo, exec_lo, s22
	s_trap 2
	ds_read_b64 v[9:10], v0
	s_waitcnt vmcnt(0) lgkmcnt(0)
	buffer_gl0_inv
	v_add_co_u32 v12, vcc_lo, v12, v81
	v_add_co_ci_u32_e64 v13, null, 0, v13, vcc_lo
	s_mov_b32 s22, exec_lo
	v_cmpx_lt_u64_e64 v[9:10], v[12:13]
	s_cbranch_execz .LBB2_258
; %bb.250:                              ;   in Loop: Header=BB2_199 Depth=2
	s_mov_b32 s23, 0
	s_mov_b32 s63, 0
                                        ; implicit-def: $sgpr61
                                        ; implicit-def: $sgpr62
	s_inst_prefetch 0x1
	s_branch .LBB2_252
	.p2align	6
.LBB2_251:                              ;   in Loop: Header=BB2_252 Depth=3
	s_or_b32 exec_lo, exec_lo, s73
	s_and_b32 s72, exec_lo, s74
	s_or_b32 s23, s72, s23
	s_andn2_b32 s61, s61, exec_lo
	s_and_b32 s72, s62, exec_lo
	s_or_b32 s61, s61, s72
	s_andn2_b32 exec_lo, exec_lo, s23
	s_cbranch_execz .LBB2_256
.LBB2_252:                              ;   Parent Loop BB2_47 Depth=1
                                        ;     Parent Loop BB2_199 Depth=2
                                        ; =>    This Inner Loop Header: Depth=3
	s_add_i32 s63, s63, 1
	s_cmpk_lg_i32 s63, 0x2710
	s_cselect_b32 s72, -1, 0
	s_and_b32 vcc_lo, exec_lo, s72
	s_cbranch_vccz .LBB2_254
; %bb.253:                              ;   in Loop: Header=BB2_252 Depth=3
	s_mov_b32 s74, -1
	s_or_b32 s62, s62, exec_lo
	s_and_saveexec_b32 s73, s72
	s_cbranch_execz .LBB2_251
	s_branch .LBB2_255
	.p2align	6
.LBB2_254:                              ;   in Loop: Header=BB2_252 Depth=3
	s_trap 2
	ds_read_b64 v[9:10], v0
	s_andn2_b32 s72, s72, exec_lo
	s_mov_b32 s63, 0
	s_waitcnt lgkmcnt(0)
	s_waitcnt_vscnt null, 0x0
	flat_load_dword v9, v[9:10] glc dlc
	s_waitcnt vmcnt(0) lgkmcnt(0)
	buffer_gl1_inv
	buffer_gl0_inv
	v_cmp_eq_u32_e32 vcc_lo, 0, v9
	s_and_b32 s73, vcc_lo, exec_lo
	s_or_b32 s72, s72, s73
	s_mov_b32 s74, -1
	s_or_b32 s62, s62, exec_lo
	s_and_saveexec_b32 s73, s72
	s_cbranch_execz .LBB2_251
.LBB2_255:                              ;   in Loop: Header=BB2_252 Depth=3
	s_sleep 1
	s_trap 2
	ds_read_b64 v[9:10], v0
	s_waitcnt lgkmcnt(0)
	buffer_gl0_inv
	s_andn2_b32 s62, s62, exec_lo
	v_cmp_ge_u64_e32 vcc_lo, v[9:10], v[12:13]
	s_orn2_b32 s74, vcc_lo, exec_lo
	s_branch .LBB2_251
.LBB2_256:                              ;   in Loop: Header=BB2_199 Depth=2
	s_inst_prefetch 0x2
	s_or_b32 exec_lo, exec_lo, s23
	s_and_saveexec_b32 s23, s61
	s_xor_b32 s23, exec_lo, s23
	s_cbranch_execz .LBB2_258
; %bb.257:                              ;   in Loop: Header=BB2_199 Depth=2
	ds_write_b32 v0, v84
	s_trap 2
.LBB2_258:                              ;   in Loop: Header=BB2_199 Depth=2
	s_or_b32 exec_lo, exec_lo, s22
	;;#ASMSTART
	s_wakeup
	;;#ASMEND
.LBB2_259:                              ;   in Loop: Header=BB2_199 Depth=2
	s_or_b32 exec_lo, exec_lo, s21
.LBB2_260:                              ;   in Loop: Header=BB2_199 Depth=2
	s_andn2_saveexec_b32 s19, s19
	s_cbranch_execz .LBB2_262
; %bb.261:                              ;   in Loop: Header=BB2_199 Depth=2
	;;#ASMSTART
	s_waitcnt lgkmcnt(0) vmcnt(0)
	;;#ASMEND
	s_barrier
.LBB2_262:                              ;   in Loop: Header=BB2_199 Depth=2
	s_or_b32 exec_lo, exec_lo, s19
.LBB2_263:                              ;   in Loop: Header=BB2_199 Depth=2
	s_or_b32 exec_lo, exec_lo, s16
	s_mov_b32 s16, exec_lo
	v_cmpx_ne_u32_e32 0, v3
	s_cbranch_execz .LBB2_198
; %bb.264:                              ;   in Loop: Header=BB2_199 Depth=2
	s_and_saveexec_b32 s19, s10
	s_cbranch_execz .LBB2_197
; %bb.265:                              ;   in Loop: Header=BB2_199 Depth=2
	s_waitcnt vmcnt(0) lgkmcnt(0)
	s_waitcnt_vscnt null, 0x0
	flat_store_dword v[24:25], v84
	s_branch .LBB2_197
.LBB2_266:                              ;   in Loop: Header=BB2_47 Depth=1
	s_or_b32 exec_lo, exec_lo, s18
.LBB2_267:                              ;   in Loop: Header=BB2_47 Depth=1
	s_or_b32 exec_lo, exec_lo, s17
	s_andn2_b32 vcc_lo, exec_lo, s46
	s_cbranch_vccnz .LBB2_492
; %bb.268:                              ;   in Loop: Header=BB2_47 Depth=1
	s_mov_b32 s18, 2
	s_branch .LBB2_271
.LBB2_269:                              ;   in Loop: Header=BB2_271 Depth=2
	s_or_b32 exec_lo, exec_lo, s19
.LBB2_270:                              ;   in Loop: Header=BB2_271 Depth=2
	s_or_b32 exec_lo, exec_lo, s17
	s_add_i32 s18, s18, 1
	s_cmp_eq_u32 s18, s25
	s_cbranch_scc1 .LBB2_492
.LBB2_271:                              ;   Parent Loop BB2_47 Depth=1
                                        ; =>  This Loop Header: Depth=2
                                        ;       Child Loop BB2_274 Depth 3
                                        ;         Child Loop BB2_282 Depth 4
                                        ;         Child Loop BB2_310 Depth 4
	;; [unrolled: 1-line block ×9, first 2 shown]
                                        ;       Child Loop BB2_420 Depth 3
                                        ;         Child Loop BB2_426 Depth 4
                                        ;         Child Loop BB2_454 Depth 4
	;; [unrolled: 1-line block ×3, first 2 shown]
	s_sub_i32 s16, s42, s18
	v_mov_b32_e32 v69, 0
	s_cmp_ge_i32 s16, s25
	s_mov_b32 s21, 0
	s_cselect_b32 s17, s25, 0
	s_sub_i32 s16, s16, s17
	s_ashr_i32 s17, s16, 31
	v_mul_lo_u32 v3, v37, s16
	v_mad_u64_u32 v[10:11], null, v36, s16, 0
	v_mul_lo_u32 v8, v36, s17
	v_add3_u32 v11, v11, v8, v3
	v_sub_co_u32 v8, vcc_lo, v48, v10
	v_sub_co_ci_u32_e64 v9, null, v49, v11, vcc_lo
	v_cmp_lt_i64_e32 vcc_lo, v[36:37], v[8:9]
	v_cndmask_b32_e32 v8, v8, v36, vcc_lo
	v_max_i32_e32 v68, 0, v8
	v_cmp_lt_i32_e32 vcc_lo, 0, v8
	v_add_nc_u32_e32 v3, 31, v68
	s_and_b32 s16, s57, vcc_lo
	v_lshrrev_b32_e32 v3, 1, v3
	v_and_b32_e32 v9, 0x3ffffff0, v3
	v_mov_b32_e32 v3, 0
	v_max_i32_e32 v8, s45, v9
	s_and_saveexec_b32 s19, s16
	s_cbranch_execz .LBB2_417
; %bb.272:                              ;   in Loop: Header=BB2_271 Depth=2
	v_mov_b32_e32 v69, 0
	s_mov_b32 s23, 1
	s_mov_b32 s22, -1
	s_branch .LBB2_274
.LBB2_273:                              ;   in Loop: Header=BB2_274 Depth=3
	s_or_b32 exec_lo, exec_lo, s16
	v_add_nc_u32_e32 v69, v8, v69
	s_xor_b32 s16, s22, -1
	v_mov_b32_e32 v3, s23
	s_mov_b32 s22, 0
	s_mov_b32 s23, 2
	v_cmp_ge_i32_e32 vcc_lo, v69, v68
	s_or_b32 s16, s16, vcc_lo
	s_and_b32 s16, exec_lo, s16
	s_or_b32 s21, s16, s21
	s_andn2_b32 exec_lo, exec_lo, s21
	s_cbranch_execz .LBB2_416
.LBB2_274:                              ;   Parent Loop BB2_47 Depth=1
                                        ;     Parent Loop BB2_271 Depth=2
                                        ; =>    This Loop Header: Depth=3
                                        ;         Child Loop BB2_282 Depth 4
                                        ;         Child Loop BB2_310 Depth 4
	;; [unrolled: 1-line block ×9, first 2 shown]
	s_and_saveexec_b32 s16, s4
	s_cbranch_execz .LBB2_276
; %bb.275:                              ;   in Loop: Header=BB2_274 Depth=3
	s_trap 2
	ds_read_b64 v[50:51], v0
	s_waitcnt lgkmcnt(0)
	v_add_co_u32 v3, vcc_lo, v50, v119
	v_add_co_ci_u32_e64 v9, null, v51, v40, vcc_lo
	v_ashrrev_i32_e32 v51, 31, v69
	v_add_co_u32 v3, vcc_lo, v3, v10
	v_add_co_ci_u32_e64 v9, null, v9, v11, vcc_lo
	v_add_co_u32 v50, vcc_lo, v3, v69
	v_add_co_ci_u32_e64 v51, null, v9, v51, vcc_lo
	v_mov_b32_e32 v3, v2
	ds_write_b64 v0, v[50:51]
	ds_write_b64 v0, v[2:3]
.LBB2_276:                              ;   in Loop: Header=BB2_274 Depth=3
	s_or_b32 exec_lo, exec_lo, s16
	v_sub_nc_u32_e32 v3, v68, v69
	v_and_b32_e32 v9, 12, v71
	s_mov_b32 s17, exec_lo
	v_min_i32_e32 v8, v8, v3
	v_cmpx_ne_u32_e32 0, v9
	s_cbranch_execz .LBB2_302
; %bb.277:                              ;   in Loop: Header=BB2_274 Depth=3
	v_and_b32_e32 v3, 8, v71
	s_mov_b32 s61, exec_lo
	s_waitcnt vmcnt(0) lgkmcnt(1)
	v_add_co_u32 v52, vcc_lo, v26, v3
	v_add_co_ci_u32_e64 v53, null, 0, v27, vcc_lo
	v_add_co_u32 v50, vcc_lo, v38, 2
	v_add_co_ci_u32_e64 v51, null, 0, v39, vcc_lo
	v_cmpx_lt_u64_e64 v[52:53], v[50:51]
	s_cbranch_execz .LBB2_289
; %bb.278:                              ;   in Loop: Header=BB2_274 Depth=3
	v_and_b32_e32 v9, 64, v71
	s_mov_b32 s62, 0
	s_mov_b32 s74, 0
                                        ; implicit-def: $sgpr63
                                        ; implicit-def: $sgpr72
                                        ; implicit-def: $sgpr73
	v_cmp_eq_u32_e32 vcc_lo, 0, v9
	s_branch .LBB2_282
.LBB2_279:                              ;   in Loop: Header=BB2_282 Depth=4
	s_waitcnt vmcnt(0) lgkmcnt(0)
	v_add_co_u32 v52, s16, v26, v3
	v_add_co_ci_u32_e64 v53, null, 0, v27, s16
	s_or_b32 s77, s77, exec_lo
	v_cmp_ge_u64_e64 s16, v[52:53], v[50:51]
	s_orn2_b32 s76, s16, exec_lo
.LBB2_280:                              ;   in Loop: Header=BB2_282 Depth=4
	s_or_b32 exec_lo, exec_lo, s79
	s_andn2_b32 s16, s73, exec_lo
	s_and_b32 s73, s77, exec_lo
	s_andn2_b32 s72, s72, exec_lo
	s_and_b32 s76, s76, exec_lo
	s_or_b32 s73, s16, s73
	s_or_b32 s72, s72, s76
.LBB2_281:                              ;   in Loop: Header=BB2_282 Depth=4
	s_or_b32 exec_lo, exec_lo, s75
	s_and_b32 s16, exec_lo, s72
	s_or_b32 s62, s16, s62
	s_andn2_b32 s16, s63, exec_lo
	s_and_b32 s63, s73, exec_lo
	s_or_b32 s63, s16, s63
	s_andn2_b32 exec_lo, exec_lo, s62
	s_cbranch_execz .LBB2_286
.LBB2_282:                              ;   Parent Loop BB2_47 Depth=1
                                        ;     Parent Loop BB2_271 Depth=2
                                        ;       Parent Loop BB2_274 Depth=3
                                        ; =>      This Inner Loop Header: Depth=4
	s_sleep 1
	s_waitcnt vmcnt(0) lgkmcnt(0)
	flat_load_dwordx2 v[26:27], v[20:21] glc dlc
	s_or_b32 s73, s73, exec_lo
	s_or_b32 s72, s72, exec_lo
                                        ; implicit-def: $vgpr9
	s_and_saveexec_b32 s75, vcc_lo
	s_cbranch_execz .LBB2_281
; %bb.283:                              ;   in Loop: Header=BB2_282 Depth=4
	s_cmpk_lt_i32 s74, 0x270f
	s_mov_b32 s76, -1
	s_cselect_b32 s78, -1, 0
	s_cmpk_gt_i32 s74, 0x270e
	s_cbranch_scc0 .LBB2_285
; %bb.284:                              ;   in Loop: Header=BB2_282 Depth=4
	s_trap 2
	ds_read_b64 v[52:53], v0
	s_andn2_b32 s74, s78, exec_lo
	s_mov_b32 s77, 0
	s_waitcnt vmcnt(0) lgkmcnt(0)
	s_waitcnt_vscnt null, 0x0
	flat_load_dword v9, v[52:53] glc dlc
	s_waitcnt vmcnt(0) lgkmcnt(0)
	buffer_gl1_inv
	buffer_gl0_inv
	v_cmp_eq_u32_e64 s16, 0, v9
	s_and_b32 s16, s16, exec_lo
	s_or_b32 s78, s74, s16
	s_mov_b32 s74, 0
	s_and_saveexec_b32 s79, s78
	s_cbranch_execz .LBB2_280
	s_branch .LBB2_279
.LBB2_285:                              ;   in Loop: Header=BB2_282 Depth=4
	s_add_i32 s74, s74, 1
	s_mov_b32 s77, -1
                                        ; implicit-def: $vgpr9
	s_and_saveexec_b32 s79, s78
	s_cbranch_execz .LBB2_280
	s_branch .LBB2_279
.LBB2_286:                              ;   in Loop: Header=BB2_274 Depth=3
	s_or_b32 exec_lo, exec_lo, s62
	s_xor_b32 s16, s63, -1
	s_and_saveexec_b32 s62, s16
	s_xor_b32 s16, exec_lo, s62
	s_cbranch_execz .LBB2_288
; %bb.287:                              ;   in Loop: Header=BB2_274 Depth=3
	v_or_b32_e32 v71, 64, v71
	s_waitcnt vmcnt(0) lgkmcnt(0)
	s_waitcnt_vscnt null, 0x0
	ds_write_b32 v0, v9
	s_trap 2
.LBB2_288:                              ;   in Loop: Header=BB2_274 Depth=3
	s_or_b32 exec_lo, exec_lo, s16
.LBB2_289:                              ;   in Loop: Header=BB2_274 Depth=3
	s_or_b32 exec_lo, exec_lo, s61
	v_and_b32_e32 v9, 0x108, v71
	s_mov_b32 s16, exec_lo
	;;#ASMSTART
	s_wakeup
	;;#ASMEND
                                        ; implicit-def: $vgpr52_vgpr53
	v_cmpx_ne_u32_e32 0x108, v9
	s_xor_b32 s16, exec_lo, s16
; %bb.290:                              ;   in Loop: Header=BB2_274 Depth=3
	v_and_b32_e32 v52, 7, v38
	v_mov_b32_e32 v53, v2
                                        ; implicit-def: $vgpr38_vgpr39
; %bb.291:                              ;   in Loop: Header=BB2_274 Depth=3
	s_andn2_saveexec_b32 s16, s16
	s_cbranch_execz .LBB2_293
; %bb.292:                              ;   in Loop: Header=BB2_274 Depth=3
	v_and_b32_e32 v52, 7, v38
	v_ashrrev_i32_e32 v9, 31, v8
	v_mov_b32_e32 v53, v2
	v_mad_u64_u32 v[38:39], null, v52, 24, v[6:7]
	flat_store_dwordx2 v[38:39], v[8:9] offset:8
.LBB2_293:                              ;   in Loop: Header=BB2_274 Depth=3
	s_or_b32 exec_lo, exec_lo, s16
	v_and_b32_e32 v9, 0x100, v71
	s_mov_b32 s16, -1
	s_mov_b32 s61, exec_lo
                                        ; implicit-def: $vgpr38_vgpr39
	v_cmpx_ne_u32_e32 0, v9
	s_cbranch_execz .LBB2_297
; %bb.294:                              ;   in Loop: Header=BB2_274 Depth=3
	v_mad_u64_u32 v[54:55], null, v52, 24, v[6:7]
	s_mov_b32 s62, exec_lo
	v_mov_b32_e32 v9, v55
	v_mad_u64_u32 v[38:39], null, v53, 24, v[9:10]
	v_mov_b32_e32 v55, v38
                                        ; implicit-def: $vgpr38_vgpr39
	flat_load_dword v9, v[54:55]
	s_waitcnt vmcnt(0) lgkmcnt(0)
	v_cmp_ne_u32_e32 vcc_lo, 1, v9
	v_cmpx_eq_u32_e32 1, v9
	s_cbranch_execz .LBB2_296
; %bb.295:                              ;   in Loop: Header=BB2_274 Depth=3
	flat_load_dword v38, v[54:55] offset:4 glc dlc
	s_waitcnt vmcnt(0) lgkmcnt(0)
	v_ashrrev_i32_e32 v39, 31, v38
.LBB2_296:                              ;   in Loop: Header=BB2_274 Depth=3
	s_or_b32 exec_lo, exec_lo, s62
	s_orn2_b32 s16, vcc_lo, exec_lo
.LBB2_297:                              ;   in Loop: Header=BB2_274 Depth=3
	s_or_b32 exec_lo, exec_lo, s61
	s_and_saveexec_b32 s61, s16
; %bb.298:                              ;   in Loop: Header=BB2_274 Depth=3
	v_mul_lo_u32 v9, v53, v80
	v_mul_lo_u32 v53, v52, v30
	v_mad_u64_u32 v[38:39], null, v52, v80, 0
	v_add3_u32 v39, v39, v53, v9
; %bb.299:                              ;   in Loop: Header=BB2_274 Depth=3
	s_or_b32 exec_lo, exec_lo, s61
	v_cmp_eq_u32_e32 vcc_lo, 0, v3
	v_and_b32_e32 v9, 0x2000, v71
	s_mov_b32 s16, exec_lo
	v_cndmask_b32_e32 v3, 0xc8, v85, vcc_lo
	v_add_co_u32 v38, vcc_lo, v22, v38
	v_add_co_ci_u32_e64 v39, null, v23, v39, vcc_lo
	v_add_nc_u32_e32 v3, v0, v3
	ds_write_b64 v3, v[38:39] offset:584
	v_cmpx_ne_u32_e32 0, v9
	s_cbranch_execz .LBB2_301
; %bb.300:                              ;   in Loop: Header=BB2_274 Depth=3
	ds_read_b64 v[38:39], v0 offset:872
	s_waitcnt lgkmcnt(0)
	v_add_co_u32 v38, vcc_lo, v38, 1
	v_add_co_ci_u32_e64 v39, null, 0, v39, vcc_lo
	ds_write_b64 v0, v[38:39] offset:872
.LBB2_301:                              ;   in Loop: Header=BB2_274 Depth=3
	s_or_b32 exec_lo, exec_lo, s16
	v_mov_b32_e32 v38, v50
	v_mov_b32_e32 v39, v51
.LBB2_302:                              ;   in Loop: Header=BB2_274 Depth=3
	s_or_b32 exec_lo, exec_lo, s17
	s_and_saveexec_b32 s16, s6
	s_cbranch_execz .LBB2_321
; %bb.303:                              ;   in Loop: Header=BB2_274 Depth=3
	s_and_saveexec_b32 s17, s29
	s_xor_b32 s17, exec_lo, s17
	s_cbranch_execz .LBB2_318
; %bb.304:                              ;   in Loop: Header=BB2_274 Depth=3
	s_and_saveexec_b32 s61, s11
	s_cbranch_execz .LBB2_317
; %bb.305:                              ;   in Loop: Header=BB2_274 Depth=3
	s_mov_b32 s63, exec_lo
	s_mov_b32 s62, exec_lo
	v_mbcnt_lo_u32_b32 v3, s63, 0
	s_waitcnt vmcnt(0) lgkmcnt(0)
	s_waitcnt_vscnt null, 0x0
	buffer_gl1_inv
	buffer_gl0_inv
	v_cmpx_eq_u32_e32 0, v3
	s_cbranch_execz .LBB2_307
; %bb.306:                              ;   in Loop: Header=BB2_274 Depth=3
	s_bcnt1_i32_b32 s63, s63
	v_mov_b32_e32 v51, v2
	v_mov_b32_e32 v50, s63
	ds_add_u64 v0, v[50:51]
	s_trap 2
.LBB2_307:                              ;   in Loop: Header=BB2_274 Depth=3
	s_or_b32 exec_lo, exec_lo, s62
	s_trap 2
	ds_read_b64 v[50:51], v0
	s_waitcnt lgkmcnt(0)
	buffer_gl0_inv
	v_add_co_u32 v12, vcc_lo, v12, v81
	v_add_co_ci_u32_e64 v13, null, 0, v13, vcc_lo
	s_mov_b32 s62, exec_lo
	v_cmpx_lt_u64_e64 v[50:51], v[12:13]
	s_cbranch_execz .LBB2_316
; %bb.308:                              ;   in Loop: Header=BB2_274 Depth=3
	s_mov_b32 s63, 0
	s_mov_b32 s74, 0
                                        ; implicit-def: $sgpr72
                                        ; implicit-def: $sgpr73
	s_inst_prefetch 0x1
	s_branch .LBB2_310
	.p2align	6
.LBB2_309:                              ;   in Loop: Header=BB2_310 Depth=4
	s_or_b32 exec_lo, exec_lo, s76
	s_and_b32 s75, exec_lo, s77
	s_or_b32 s63, s75, s63
	s_andn2_b32 s72, s72, exec_lo
	s_and_b32 s75, s73, exec_lo
	s_or_b32 s72, s72, s75
	s_andn2_b32 exec_lo, exec_lo, s63
	s_cbranch_execz .LBB2_314
.LBB2_310:                              ;   Parent Loop BB2_47 Depth=1
                                        ;     Parent Loop BB2_271 Depth=2
                                        ;       Parent Loop BB2_274 Depth=3
                                        ; =>      This Inner Loop Header: Depth=4
	s_add_i32 s74, s74, 1
	s_cmpk_lg_i32 s74, 0x2710
	s_cselect_b32 s75, -1, 0
	s_and_b32 vcc_lo, exec_lo, s75
	s_cbranch_vccz .LBB2_312
; %bb.311:                              ;   in Loop: Header=BB2_310 Depth=4
	s_mov_b32 s77, -1
	s_or_b32 s73, s73, exec_lo
	s_and_saveexec_b32 s76, s75
	s_cbranch_execz .LBB2_309
	s_branch .LBB2_313
	.p2align	6
.LBB2_312:                              ;   in Loop: Header=BB2_310 Depth=4
	s_trap 2
	ds_read_b64 v[50:51], v0
	s_andn2_b32 s75, s75, exec_lo
	s_mov_b32 s74, 0
	s_waitcnt lgkmcnt(0)
	flat_load_dword v3, v[50:51] glc dlc
	s_waitcnt vmcnt(0) lgkmcnt(0)
	buffer_gl1_inv
	buffer_gl0_inv
	v_cmp_eq_u32_e32 vcc_lo, 0, v3
	s_and_b32 s76, vcc_lo, exec_lo
	s_or_b32 s75, s75, s76
	s_mov_b32 s77, -1
	s_or_b32 s73, s73, exec_lo
	s_and_saveexec_b32 s76, s75
	s_cbranch_execz .LBB2_309
.LBB2_313:                              ;   in Loop: Header=BB2_310 Depth=4
	s_sleep 1
	s_trap 2
	ds_read_b64 v[50:51], v0
	s_waitcnt lgkmcnt(0)
	buffer_gl0_inv
	s_andn2_b32 s73, s73, exec_lo
	v_cmp_ge_u64_e32 vcc_lo, v[50:51], v[12:13]
	s_orn2_b32 s77, vcc_lo, exec_lo
	s_branch .LBB2_309
.LBB2_314:                              ;   in Loop: Header=BB2_274 Depth=3
	s_inst_prefetch 0x2
	s_or_b32 exec_lo, exec_lo, s63
	s_and_saveexec_b32 s63, s72
	s_xor_b32 s63, exec_lo, s63
	s_cbranch_execz .LBB2_316
; %bb.315:                              ;   in Loop: Header=BB2_274 Depth=3
	ds_write_b32 v0, v84
	s_trap 2
.LBB2_316:                              ;   in Loop: Header=BB2_274 Depth=3
	s_or_b32 exec_lo, exec_lo, s62
	;;#ASMSTART
	s_wakeup
	;;#ASMEND
.LBB2_317:                              ;   in Loop: Header=BB2_274 Depth=3
	s_or_b32 exec_lo, exec_lo, s61
.LBB2_318:                              ;   in Loop: Header=BB2_274 Depth=3
	s_andn2_saveexec_b32 s17, s17
	s_cbranch_execz .LBB2_320
; %bb.319:                              ;   in Loop: Header=BB2_274 Depth=3
	s_waitcnt vmcnt(0) lgkmcnt(0)
	s_waitcnt_vscnt null, 0x0
	buffer_gl1_inv
	buffer_gl0_inv
	s_barrier
.LBB2_320:                              ;   in Loop: Header=BB2_274 Depth=3
	s_or_b32 exec_lo, exec_lo, s17
.LBB2_321:                              ;   in Loop: Header=BB2_274 Depth=3
	s_or_b32 exec_lo, exec_lo, s16
	s_trap 2
	ds_read_b32 v3, v0
	v_and_b32_e32 v9, 0x4000, v71
	s_xor_b32 s16, s5, -1
	v_cmp_ne_u32_e32 vcc_lo, 0, v9
	s_and_b32 s17, s16, vcc_lo
	s_and_saveexec_b32 s16, s17
	s_cbranch_execz .LBB2_340
; %bb.322:                              ;   in Loop: Header=BB2_274 Depth=3
	s_and_saveexec_b32 s17, s29
	s_xor_b32 s17, exec_lo, s17
	s_cbranch_execz .LBB2_337
; %bb.323:                              ;   in Loop: Header=BB2_274 Depth=3
	s_and_saveexec_b32 s61, s11
	s_cbranch_execz .LBB2_336
; %bb.324:                              ;   in Loop: Header=BB2_274 Depth=3
	s_mov_b32 s63, exec_lo
	s_mov_b32 s62, exec_lo
	v_mbcnt_lo_u32_b32 v9, s63, 0
	s_waitcnt vmcnt(0) lgkmcnt(0)
	s_waitcnt_vscnt null, 0x0
	buffer_gl1_inv
	buffer_gl0_inv
	v_cmpx_eq_u32_e32 0, v9
	s_cbranch_execz .LBB2_326
; %bb.325:                              ;   in Loop: Header=BB2_274 Depth=3
	s_bcnt1_i32_b32 s63, s63
	v_mov_b32_e32 v51, v2
	v_mov_b32_e32 v50, s63
	ds_add_u64 v0, v[50:51]
	s_trap 2
.LBB2_326:                              ;   in Loop: Header=BB2_274 Depth=3
	s_or_b32 exec_lo, exec_lo, s62
	s_trap 2
	ds_read_b64 v[50:51], v0
	s_waitcnt lgkmcnt(0)
	buffer_gl0_inv
	v_add_co_u32 v12, vcc_lo, v12, v81
	v_add_co_ci_u32_e64 v13, null, 0, v13, vcc_lo
	s_mov_b32 s62, exec_lo
	v_cmpx_lt_u64_e64 v[50:51], v[12:13]
	s_cbranch_execz .LBB2_335
; %bb.327:                              ;   in Loop: Header=BB2_274 Depth=3
	s_mov_b32 s63, 0
	s_mov_b32 s74, 0
                                        ; implicit-def: $sgpr72
                                        ; implicit-def: $sgpr73
	s_inst_prefetch 0x1
	s_branch .LBB2_329
	.p2align	6
.LBB2_328:                              ;   in Loop: Header=BB2_329 Depth=4
	s_or_b32 exec_lo, exec_lo, s76
	s_and_b32 s75, exec_lo, s77
	s_or_b32 s63, s75, s63
	s_andn2_b32 s72, s72, exec_lo
	s_and_b32 s75, s73, exec_lo
	s_or_b32 s72, s72, s75
	s_andn2_b32 exec_lo, exec_lo, s63
	s_cbranch_execz .LBB2_333
.LBB2_329:                              ;   Parent Loop BB2_47 Depth=1
                                        ;     Parent Loop BB2_271 Depth=2
                                        ;       Parent Loop BB2_274 Depth=3
                                        ; =>      This Inner Loop Header: Depth=4
	s_add_i32 s74, s74, 1
	s_cmpk_lg_i32 s74, 0x2710
	s_cselect_b32 s75, -1, 0
	s_and_b32 vcc_lo, exec_lo, s75
	s_cbranch_vccz .LBB2_331
; %bb.330:                              ;   in Loop: Header=BB2_329 Depth=4
	s_mov_b32 s77, -1
	s_or_b32 s73, s73, exec_lo
	s_and_saveexec_b32 s76, s75
	s_cbranch_execz .LBB2_328
	s_branch .LBB2_332
	.p2align	6
.LBB2_331:                              ;   in Loop: Header=BB2_329 Depth=4
	s_trap 2
	ds_read_b64 v[50:51], v0
	s_andn2_b32 s75, s75, exec_lo
	s_mov_b32 s74, 0
	s_waitcnt lgkmcnt(0)
	flat_load_dword v9, v[50:51] glc dlc
	s_waitcnt vmcnt(0) lgkmcnt(0)
	buffer_gl1_inv
	buffer_gl0_inv
	v_cmp_eq_u32_e32 vcc_lo, 0, v9
	s_and_b32 s76, vcc_lo, exec_lo
	s_or_b32 s75, s75, s76
	s_mov_b32 s77, -1
	s_or_b32 s73, s73, exec_lo
	s_and_saveexec_b32 s76, s75
	s_cbranch_execz .LBB2_328
.LBB2_332:                              ;   in Loop: Header=BB2_329 Depth=4
	s_sleep 1
	s_trap 2
	ds_read_b64 v[50:51], v0
	s_waitcnt lgkmcnt(0)
	buffer_gl0_inv
	s_andn2_b32 s73, s73, exec_lo
	v_cmp_ge_u64_e32 vcc_lo, v[50:51], v[12:13]
	s_orn2_b32 s77, vcc_lo, exec_lo
	s_branch .LBB2_328
.LBB2_333:                              ;   in Loop: Header=BB2_274 Depth=3
	s_inst_prefetch 0x2
	s_or_b32 exec_lo, exec_lo, s63
	s_and_saveexec_b32 s63, s72
	s_xor_b32 s63, exec_lo, s63
	s_cbranch_execz .LBB2_335
; %bb.334:                              ;   in Loop: Header=BB2_274 Depth=3
	ds_write_b32 v0, v84
	s_trap 2
.LBB2_335:                              ;   in Loop: Header=BB2_274 Depth=3
	s_or_b32 exec_lo, exec_lo, s62
	;;#ASMSTART
	s_wakeup
	;;#ASMEND
.LBB2_336:                              ;   in Loop: Header=BB2_274 Depth=3
	s_or_b32 exec_lo, exec_lo, s61
.LBB2_337:                              ;   in Loop: Header=BB2_274 Depth=3
	s_andn2_saveexec_b32 s17, s17
	s_cbranch_execz .LBB2_339
; %bb.338:                              ;   in Loop: Header=BB2_274 Depth=3
	s_waitcnt vmcnt(0) lgkmcnt(0)
	s_waitcnt_vscnt null, 0x0
	buffer_gl1_inv
	buffer_gl0_inv
	s_barrier
.LBB2_339:                              ;   in Loop: Header=BB2_274 Depth=3
	s_or_b32 exec_lo, exec_lo, s17
.LBB2_340:                              ;   in Loop: Header=BB2_274 Depth=3
	s_or_b32 exec_lo, exec_lo, s16
	s_trap 2
	ds_read_b64 v[50:51], v0
	s_waitcnt lgkmcnt(0)
	v_cmp_eq_u64_e32 vcc_lo, 0, v[50:51]
	s_cbranch_vccnz .LBB2_348
; %bb.341:                              ;   in Loop: Header=BB2_274 Depth=3
	s_trap 2
	ds_read_b64 v[52:53], v0
	s_waitcnt lgkmcnt(0)
	v_cmp_eq_u64_e32 vcc_lo, 0, v[52:53]
	s_cbranch_vccnz .LBB2_348
; %bb.342:                              ;   in Loop: Header=BB2_274 Depth=3
	s_mov_b32 s16, -1
	s_and_saveexec_b32 s17, s15
	s_cbranch_execz .LBB2_344
; %bb.343:                              ;   in Loop: Header=BB2_274 Depth=3
	ds_read_b32 v9, v0 offset:720
	s_waitcnt lgkmcnt(0)
	v_and_b32_e32 v9, 15, v9
	v_cmp_eq_u32_e32 vcc_lo, 0, v9
	s_orn2_b32 s16, vcc_lo, exec_lo
.LBB2_344:                              ;   in Loop: Header=BB2_274 Depth=3
	s_or_b32 exec_lo, exec_lo, s17
	s_and_saveexec_b32 s17, s14
	s_cbranch_execz .LBB2_346
; %bb.345:                              ;   in Loop: Header=BB2_274 Depth=3
	ds_read_b32 v9, v0 offset:784
	s_waitcnt lgkmcnt(0)
	v_and_b32_e32 v9, 15, v9
	v_cmp_eq_u32_e32 vcc_lo, 0, v9
	s_and_b32 s61, s16, vcc_lo
	s_andn2_b32 s16, s16, exec_lo
	s_and_b32 s61, s61, exec_lo
	s_or_b32 s16, s16, s61
.LBB2_346:                              ;   in Loop: Header=BB2_274 Depth=3
	s_or_b32 exec_lo, exec_lo, s17
	v_cmp_eq_u32_e32 vcc_lo, 0, v3
	s_xor_b32 s16, s16, -1
	v_mov_b32_e32 v65, v0
	v_cndmask_b32_e64 v9, 0, 1, s16
	v_mov_b32_e32 v54, v103
	v_cndmask_b32_e32 v3, 0, v8, vcc_lo
	s_mov_b32 s62, -1
	v_cmp_ne_u32_e32 vcc_lo, 0, v9
	v_mov_b32_e32 v9, 0
	v_mov_b32_e32 v64, v3
	s_cbranch_vccz .LBB2_349
; %bb.347:                              ;   in Loop: Header=BB2_274 Depth=3
	s_and_saveexec_b32 s17, s62
	s_cbranch_execnz .LBB2_362
	s_branch .LBB2_370
.LBB2_348:                              ;   in Loop: Header=BB2_274 Depth=3
	s_mov_b32 s16, 0
	s_and_saveexec_b32 s17, s6
	s_cbranch_execnz .LBB2_371
	s_branch .LBB2_389
.LBB2_349:                              ;   in Loop: Header=BB2_274 Depth=3
	v_ashrrev_i32_e32 v9, 31, v3
	s_mov_b32 s61, exec_lo
	v_lshrrev_b32_e32 v9, 23, v9
	v_add_nc_u32_e32 v9, v3, v9
	v_and_b32_e32 v41, 0xfffffe00, v9
	v_ashrrev_i32_e32 v54, 9, v9
	v_sub_nc_u32_e32 v9, v3, v83
	v_sub_nc_u32_e32 v43, v3, v41
	v_cmp_lt_i32_e32 vcc_lo, 15, v43
	v_add_co_ci_u32_e64 v44, null, v54, v116, vcc_lo
	v_cmpx_lt_i32_e32 15, v9
	s_cbranch_execz .LBB2_353
; %bb.350:                              ;   in Loop: Header=BB2_274 Depth=3
	s_trap 2
	ds_read_b64 v[64:65], v0
	v_add_co_u32 v54, s16, v50, v83
	v_add_co_ci_u32_e64 v55, null, v51, v99, s16
	s_mov_b32 s62, 0
	s_waitcnt lgkmcnt(0)
	v_add_co_u32 v64, s16, v64, v83
	v_add_co_ci_u32_e64 v65, null, v65, v99, s16
	v_add_co_u32 v66, s16, v52, v83
	v_add_co_ci_u32_e64 v67, null, v53, v99, s16
.LBB2_351:                              ;   Parent Loop BB2_47 Depth=1
                                        ;     Parent Loop BB2_271 Depth=2
                                        ;       Parent Loop BB2_274 Depth=3
                                        ; =>      This Inner Loop Header: Depth=4
	global_load_dwordx4 v[56:59], v[64:65], off slc
	global_load_dwordx4 v[60:63], v[54:55], off slc
	v_sub_nc_u32_e32 v9, v9, v97
	v_add_co_u32 v54, s16, v54, v97
	v_add_co_ci_u32_e64 v55, null, 0, v55, s16
	v_add_co_u32 v64, s16, v64, v97
	v_add_co_ci_u32_e64 v65, null, 0, v65, s16
	v_cmp_gt_i32_e64 s16, 16, v9
	v_sub_nc_u32_e32 v44, v44, v81
	s_or_b32 s62, s16, s62
	s_waitcnt vmcnt(1)
	v_lshrrev_b32_e32 v42, 8, v56
	v_lshrrev_b32_e32 v45, 8, v57
	;; [unrolled: 1-line block ×4, first 2 shown]
	s_waitcnt vmcnt(0)
	v_lshlrev_b32_sdwa v72, v86, v60 dst_sel:DWORD dst_unused:UNUSED_PAD src0_sel:DWORD src1_sel:BYTE_3
	v_and_b32_e32 v74, 0xff00, v60
	v_lshlrev_b32_sdwa v75, v86, v61 dst_sel:DWORD dst_unused:UNUSED_PAD src0_sel:DWORD src1_sel:BYTE_3
	v_and_b32_e32 v77, 0xff00, v61
	;; [unrolled: 2-line block ×4, first 2 shown]
	v_mul_lo_u32 v73, v56, v60
	v_mul_lo_u32 v76, v57, v61
	;; [unrolled: 1-line block ×4, first 2 shown]
	v_mul_u32_u24_sdwa v60, v56, v60 dst_sel:DWORD dst_unused:UNUSED_PAD src0_sel:WORD_1 src1_sel:WORD_1
	v_mul_u32_u24_sdwa v61, v57, v61 dst_sel:DWORD dst_unused:UNUSED_PAD src0_sel:WORD_1 src1_sel:WORD_1
	;; [unrolled: 1-line block ×4, first 2 shown]
	v_mul_u32_u24_e32 v42, v42, v74
	v_mul_u32_u24_sdwa v56, v56, v72 dst_sel:DWORD dst_unused:UNUSED_PAD src0_sel:BYTE_3 src1_sel:DWORD
	v_mul_u32_u24_e32 v45, v45, v77
	v_mul_u32_u24_sdwa v57, v57, v75 dst_sel:DWORD dst_unused:UNUSED_PAD src0_sel:BYTE_3 src1_sel:DWORD
	;; [unrolled: 2-line block ×4, first 2 shown]
	v_perm_b32 v42, v42, v73, 0xc0c0500
	v_perm_b32 v56, v56, v60, 0xc0c0500
	v_perm_b32 v45, v45, v76, 0xc0c0500
	v_perm_b32 v57, v57, v61, 0xc0c0500
	v_perm_b32 v46, v46, v79, 0xc0c0500
	v_perm_b32 v58, v58, v62, 0xc0c0500
	v_perm_b32 v47, v47, v90, 0xc0c0500
	v_perm_b32 v59, v59, v63, 0xc0c0500
	v_lshl_or_b32 v56, v56, 16, v42
	v_lshl_or_b32 v57, v57, 16, v45
	;; [unrolled: 1-line block ×4, first 2 shown]
	global_store_dwordx4 v[66:67], v[56:59], off glc slc
	v_add_co_u32 v66, s17, v66, v97
	v_add_co_ci_u32_e64 v67, null, 0, v67, s17
	s_andn2_b32 exec_lo, exec_lo, s62
	s_cbranch_execnz .LBB2_351
; %bb.352:                              ;   in Loop: Header=BB2_274 Depth=3
	s_or_b32 exec_lo, exec_lo, s62
.LBB2_353:                              ;   in Loop: Header=BB2_274 Depth=3
	s_or_b32 exec_lo, exec_lo, s61
	v_and_b32_e32 v55, 15, v3
	v_mov_b32_e32 v9, 0
	s_mov_b32 s62, 0
	s_mov_b32 s61, exec_lo
                                        ; implicit-def: $vgpr64
                                        ; implicit-def: $vgpr65
                                        ; implicit-def: $vgpr54
	v_cndmask_b32_e32 v42, v43, v55, vcc_lo
	v_cmpx_ne_u32_e32 0, v42
	s_cbranch_execz .LBB2_361
; %bb.354:                              ;   in Loop: Header=BB2_274 Depth=3
	v_cmp_lt_i32_e64 s16, 0, v44
	v_ashrrev_i32_e32 v64, 31, v42
	v_sub_nc_u32_e32 v55, v43, v55
	s_mov_b32 s62, exec_lo
	v_cndmask_b32_e64 v9, 0, v81, s16
	v_lshrrev_b32_e32 v64, 23, v64
	v_cndmask_b32_e32 v55, 0, v55, vcc_lo
	v_sub_nc_u32_e32 v9, v9, v44
	v_add_nc_u32_e32 v64, v42, v64
	v_add_nc_u32_e32 v41, v55, v41
	v_lshl_add_u32 v9, v9, 5, v115
	v_and_b32_e32 v44, 0xfffffe00, v64
	v_ashrrev_i32_e32 v64, 9, v64
	v_ashrrev_i32_e32 v54, 31, v9
	v_sub_nc_u32_e32 v43, v42, v44
	v_lshrrev_b32_e32 v54, 27, v54
	v_cmp_lt_i32_e32 vcc_lo, 15, v43
	v_add_nc_u32_e32 v54, v9, v54
	v_add_co_ci_u32_e64 v64, null, 0, v64, vcc_lo
	v_and_b32_e32 v65, 0xffffffe0, v54
	v_sub_nc_u32_e32 v45, v9, v65
	v_ashrrev_i32_e32 v65, 5, v54
	v_lshlrev_b32_e32 v9, 4, v45
	v_sub_nc_u32_e32 v46, v64, v65
	v_lshl_add_u32 v54, v65, 9, v9
	v_sub_nc_u32_e32 v9, v42, v54
	v_cmpx_lt_i32_e32 15, v9
	s_cbranch_execz .LBB2_358
; %bb.355:                              ;   in Loop: Header=BB2_274 Depth=3
	s_trap 2
	ds_read_b64 v[64:65], v0
	v_add_nc_u32_e32 v66, v54, v41
	s_mov_b32 s63, 0
	v_ashrrev_i32_e32 v67, 31, v66
	v_add_co_u32 v54, s16, v66, v50
	v_add_co_ci_u32_e64 v55, null, v67, v51, s16
	s_waitcnt lgkmcnt(0)
	v_add_co_u32 v64, s16, v64, v66
	v_add_co_ci_u32_e64 v65, null, v65, v67, s16
	v_add_co_u32 v66, s16, v66, v52
	v_add_co_ci_u32_e64 v67, null, v67, v53, s16
.LBB2_356:                              ;   Parent Loop BB2_47 Depth=1
                                        ;     Parent Loop BB2_271 Depth=2
                                        ;       Parent Loop BB2_274 Depth=3
                                        ; =>      This Inner Loop Header: Depth=4
	global_load_dwordx4 v[56:59], v[64:65], off slc
	global_load_dwordx4 v[60:63], v[54:55], off slc
	v_sub_nc_u32_e32 v9, v9, v97
	v_add_co_u32 v54, s16, v54, v97
	v_add_co_ci_u32_e64 v55, null, 0, v55, s16
	v_add_co_u32 v64, s16, v64, v97
	v_add_co_ci_u32_e64 v65, null, 0, v65, s16
	v_cmp_gt_i32_e64 s16, 16, v9
	v_sub_nc_u32_e32 v46, v46, v81
	s_or_b32 s63, s16, s63
	s_waitcnt vmcnt(1)
	v_lshrrev_b32_e32 v47, 8, v56
	v_lshrrev_b32_e32 v72, 8, v57
	;; [unrolled: 1-line block ×4, first 2 shown]
	s_waitcnt vmcnt(0)
	v_lshlrev_b32_sdwa v75, v86, v60 dst_sel:DWORD dst_unused:UNUSED_PAD src0_sel:DWORD src1_sel:BYTE_3
	v_and_b32_e32 v77, 0xff00, v60
	v_lshlrev_b32_sdwa v78, v86, v61 dst_sel:DWORD dst_unused:UNUSED_PAD src0_sel:DWORD src1_sel:BYTE_3
	v_and_b32_e32 v88, 0xff00, v61
	;; [unrolled: 2-line block ×4, first 2 shown]
	v_mul_lo_u32 v76, v56, v60
	v_mul_lo_u32 v79, v57, v61
	;; [unrolled: 1-line block ×4, first 2 shown]
	v_mul_u32_u24_sdwa v60, v56, v60 dst_sel:DWORD dst_unused:UNUSED_PAD src0_sel:WORD_1 src1_sel:WORD_1
	v_mul_u32_u24_sdwa v61, v57, v61 dst_sel:DWORD dst_unused:UNUSED_PAD src0_sel:WORD_1 src1_sel:WORD_1
	;; [unrolled: 1-line block ×4, first 2 shown]
	v_mul_u32_u24_e32 v47, v47, v77
	v_mul_u32_u24_sdwa v56, v56, v75 dst_sel:DWORD dst_unused:UNUSED_PAD src0_sel:BYTE_3 src1_sel:DWORD
	v_mul_u32_u24_e32 v72, v72, v88
	v_mul_u32_u24_sdwa v57, v57, v78 dst_sel:DWORD dst_unused:UNUSED_PAD src0_sel:BYTE_3 src1_sel:DWORD
	;; [unrolled: 2-line block ×4, first 2 shown]
	v_perm_b32 v47, v47, v76, 0xc0c0500
	v_perm_b32 v56, v56, v60, 0xc0c0500
	;; [unrolled: 1-line block ×8, first 2 shown]
	v_lshl_or_b32 v56, v56, 16, v47
	v_lshl_or_b32 v57, v57, 16, v60
	;; [unrolled: 1-line block ×4, first 2 shown]
	global_store_dwordx4 v[66:67], v[56:59], off glc slc
	v_add_co_u32 v66, s17, v66, v97
	v_add_co_ci_u32_e64 v67, null, 0, v67, s17
	s_andn2_b32 exec_lo, exec_lo, s63
	s_cbranch_execnz .LBB2_356
; %bb.357:                              ;   in Loop: Header=BB2_274 Depth=3
	s_or_b32 exec_lo, exec_lo, s63
.LBB2_358:                              ;   in Loop: Header=BB2_274 Depth=3
	s_or_b32 exec_lo, exec_lo, s62
	v_and_b32_e32 v55, 15, v42
	v_mov_b32_e32 v9, 0
	s_mov_b32 s17, 0
	s_mov_b32 s62, exec_lo
                                        ; implicit-def: $vgpr65
                                        ; implicit-def: $vgpr54
	v_cndmask_b32_e32 v64, v43, v55, vcc_lo
	v_cmpx_ne_u32_e32 0, v64
	s_cbranch_execz .LBB2_360
; %bb.359:                              ;   in Loop: Header=BB2_274 Depth=3
	v_cmp_lt_i32_e64 s16, 0, v46
	v_sub_nc_u32_e32 v54, v43, v55
	s_mov_b32 s17, exec_lo
	v_cndmask_b32_e64 v9, 0, v81, s16
	v_cndmask_b32_e32 v54, 0, v54, vcc_lo
	v_sub_nc_u32_e32 v9, v9, v46
	v_lshl_add_u32 v65, v9, 5, v45
	v_ashrrev_i32_e32 v9, 31, v65
	v_lshrrev_b32_e32 v9, 27, v9
	v_add_nc_u32_e32 v55, v65, v9
	v_add3_u32 v9, v44, v41, v54
	v_ashrrev_i32_e32 v54, 5, v55
.LBB2_360:                              ;   in Loop: Header=BB2_274 Depth=3
	s_or_b32 exec_lo, exec_lo, s62
	s_and_b32 s62, s17, exec_lo
.LBB2_361:                              ;   in Loop: Header=BB2_274 Depth=3
	s_or_b32 exec_lo, exec_lo, s61
	s_and_saveexec_b32 s17, s62
	s_cbranch_execz .LBB2_370
.LBB2_362:                              ;   in Loop: Header=BB2_274 Depth=3
	v_ashrrev_i32_e32 v55, 31, v64
	s_mov_b32 s61, exec_lo
	v_add_nc_u32_sdwa v55, v64, v55 dst_sel:DWORD dst_unused:UNUSED_PAD src0_sel:DWORD src1_sel:BYTE_3
	v_ashrrev_i32_e32 v41, 8, v55
	v_ashrrev_i32_e32 v55, 31, v65
	v_sub_nc_u32_e32 v66, v41, v54
	v_lshrrev_b32_e32 v67, 27, v55
	v_cmpx_lt_i32_e32 0, v66
	s_cbranch_execz .LBB2_366
; %bb.363:                              ;   in Loop: Header=BB2_274 Depth=3
	v_add_nc_u32_e32 v55, v65, v67
	v_lshlrev_b32_e32 v43, 8, v54
	s_trap 2
	v_add_co_u32 v44, vcc_lo, 0xe0, v52
	v_and_b32_e32 v42, 0xffffffe0, v55
	ds_read_b64 v[54:55], v0
	v_add_co_ci_u32_e64 v45, null, 0, v53, vcc_lo
	s_mov_b32 s62, 0
	v_sub_nc_u32_e32 v42, v65, v42
	v_add3_u32 v42, v9, v42, v43
	v_ashrrev_i32_e32 v43, 31, v42
	v_add_co_u32 v50, vcc_lo, v42, v50
	v_add_co_ci_u32_e64 v51, null, v43, v51, vcc_lo
	s_waitcnt lgkmcnt(0)
	v_add_co_u32 v52, vcc_lo, v54, v42
	v_add_co_ci_u32_e64 v53, null, v55, v43, vcc_lo
	v_add_co_u32 v54, vcc_lo, v44, v42
	v_add_co_ci_u32_e64 v55, null, v45, v43, vcc_lo
.LBB2_364:                              ;   Parent Loop BB2_47 Depth=1
                                        ;     Parent Loop BB2_271 Depth=2
                                        ;       Parent Loop BB2_274 Depth=3
                                        ; =>      This Inner Loop Header: Depth=4
	s_clause 0x7
	flat_load_ubyte v72, v[50:51] slc
	flat_load_ubyte v73, v[50:51] offset:32 slc
	flat_load_ubyte v74, v[50:51] offset:64 slc
	;; [unrolled: 1-line block ×7, first 2 shown]
	s_clause 0x7
	flat_load_ubyte v88, v[52:53] slc
	flat_load_ubyte v89, v[52:53] offset:32 slc
	flat_load_ubyte v90, v[52:53] offset:64 slc
	;; [unrolled: 1-line block ×7, first 2 shown]
	v_add_co_u32 v42, vcc_lo, 0xffffff20, v54
	v_add_co_ci_u32_e64 v43, null, -1, v55, vcc_lo
	v_add_co_u32 v44, vcc_lo, 0xffffff40, v54
	v_add_co_ci_u32_e64 v45, null, -1, v55, vcc_lo
	;; [unrolled: 2-line block ×6, first 2 shown]
	v_add_co_u32 v62, vcc_lo, 0xffffffe0, v54
	v_sub_nc_u32_e32 v66, v66, v81
	v_add_co_ci_u32_e64 v63, null, -1, v55, vcc_lo
	v_add_co_u32 v50, vcc_lo, v50, v98
	v_add_co_ci_u32_e64 v51, null, 0, v51, vcc_lo
	v_add_co_u32 v52, vcc_lo, v52, v98
	v_add_co_ci_u32_e64 v53, null, 0, v53, vcc_lo
	v_cmp_gt_i32_e32 vcc_lo, 1, v66
	s_or_b32 s62, vcc_lo, s62
	s_waitcnt vmcnt(7) lgkmcnt(7)
	v_mul_lo_u16 v72, v88, v72
	s_waitcnt vmcnt(6) lgkmcnt(6)
	v_mul_lo_u16 v73, v89, v73
	s_waitcnt vmcnt(5) lgkmcnt(5)
	v_mul_lo_u16 v74, v90, v74
	s_waitcnt vmcnt(4) lgkmcnt(4)
	v_mul_lo_u16 v75, v91, v75
	s_waitcnt vmcnt(3) lgkmcnt(3)
	v_mul_lo_u16 v76, v92, v76
	s_waitcnt vmcnt(2) lgkmcnt(2)
	v_mul_lo_u16 v77, v93, v77
	s_waitcnt vmcnt(1) lgkmcnt(1)
	v_mul_lo_u16 v78, v94, v78
	s_waitcnt vmcnt(0) lgkmcnt(0)
	v_mul_lo_u16 v79, v95, v79
	flat_store_byte v[42:43], v72 glc slc
	flat_store_byte v[44:45], v73 glc slc
	;; [unrolled: 1-line block ×8, first 2 shown]
	v_add_co_u32 v54, s16, v54, v98
	v_add_co_ci_u32_e64 v55, null, 0, v55, s16
	s_andn2_b32 exec_lo, exec_lo, s62
	s_cbranch_execnz .LBB2_364
; %bb.365:                              ;   in Loop: Header=BB2_274 Depth=3
	s_or_b32 exec_lo, exec_lo, s62
.LBB2_366:                              ;   in Loop: Header=BB2_274 Depth=3
	s_or_b32 exec_lo, exec_lo, s61
	v_lshlrev_b32_e32 v50, 8, v41
	v_cmp_ne_u32_e32 vcc_lo, v64, v50
	s_and_b32 exec_lo, exec_lo, vcc_lo
	s_cbranch_execz .LBB2_370
; %bb.367:                              ;   in Loop: Header=BB2_274 Depth=3
	v_add_nc_u32_e32 v51, v65, v67
	v_lshlrev_b32_e32 v52, 5, v66
	v_and_b32_e32 v51, 0xffffffe0, v51
	v_sub_nc_u32_e32 v51, v65, v51
	v_sub_nc_u32_e32 v51, v51, v52
	v_add_nc_u32_e32 v50, v50, v51
	v_sub_nc_u32_e32 v64, v64, v50
	v_cmp_lt_i32_e32 vcc_lo, 0, v64
	s_and_b32 exec_lo, exec_lo, vcc_lo
	s_cbranch_execz .LBB2_370
; %bb.368:                              ;   in Loop: Header=BB2_274 Depth=3
	s_trap 2
	ds_read_b128 v[51:54], v0
	ds_read_b64 v[65:66], v0
	v_add_nc_u32_e32 v9, v50, v9
	s_mov_b32 s61, 0
	v_ashrrev_i32_e32 v55, 31, v9
	s_waitcnt lgkmcnt(1)
	v_add_co_u32 v50, vcc_lo, v51, v9
	v_add_co_ci_u32_e64 v51, null, v52, v55, vcc_lo
	v_add_co_u32 v52, vcc_lo, v53, v9
	v_add_co_ci_u32_e64 v53, null, v54, v55, vcc_lo
	s_waitcnt lgkmcnt(0)
	v_add_co_u32 v54, vcc_lo, v65, v9
	v_add_co_ci_u32_e64 v55, null, v66, v55, vcc_lo
	.p2align	6
.LBB2_369:                              ;   Parent Loop BB2_47 Depth=1
                                        ;     Parent Loop BB2_271 Depth=2
                                        ;       Parent Loop BB2_274 Depth=3
                                        ; =>      This Inner Loop Header: Depth=4
	flat_load_ubyte v9, v[50:51] slc
	flat_load_ubyte v65, v[52:53] slc
	v_sub_nc_u32_e32 v64, v64, v82
	v_add_co_u32 v50, vcc_lo, v50, v82
	v_add_co_ci_u32_e64 v51, null, 0, v51, vcc_lo
	v_add_co_u32 v52, vcc_lo, v52, v82
	v_add_co_ci_u32_e64 v53, null, 0, v53, vcc_lo
	v_cmp_gt_i32_e32 vcc_lo, 1, v64
	s_or_b32 s61, vcc_lo, s61
	s_waitcnt vmcnt(0) lgkmcnt(0)
	v_mul_lo_u16 v9, v65, v9
	flat_store_byte v[54:55], v9 glc slc
	v_add_co_u32 v54, s16, v54, v82
	v_add_co_ci_u32_e64 v55, null, 0, v55, s16
	s_andn2_b32 exec_lo, exec_lo, s61
	s_cbranch_execnz .LBB2_369
.LBB2_370:                              ;   in Loop: Header=BB2_274 Depth=3
	s_or_b32 exec_lo, exec_lo, s17
	v_cmp_lt_i32_e64 s16, 0, v3
	s_and_saveexec_b32 s17, s6
	s_cbranch_execz .LBB2_389
.LBB2_371:                              ;   in Loop: Header=BB2_274 Depth=3
	s_and_saveexec_b32 s61, s29
	s_xor_b32 s61, exec_lo, s61
	s_cbranch_execz .LBB2_386
; %bb.372:                              ;   in Loop: Header=BB2_274 Depth=3
	s_and_saveexec_b32 s62, s11
	s_cbranch_execz .LBB2_385
; %bb.373:                              ;   in Loop: Header=BB2_274 Depth=3
	s_mov_b32 s72, exec_lo
	s_mov_b32 s63, exec_lo
	v_mbcnt_lo_u32_b32 v3, s72, 0
	s_waitcnt vmcnt(0) lgkmcnt(0)
	s_waitcnt_vscnt null, 0x0
	buffer_gl1_inv
	buffer_gl0_inv
	v_cmpx_eq_u32_e32 0, v3
	s_cbranch_execz .LBB2_375
; %bb.374:                              ;   in Loop: Header=BB2_274 Depth=3
	s_bcnt1_i32_b32 s72, s72
	v_mov_b32_e32 v51, v2
	v_mov_b32_e32 v50, s72
	ds_add_u64 v0, v[50:51]
	s_trap 2
.LBB2_375:                              ;   in Loop: Header=BB2_274 Depth=3
	s_or_b32 exec_lo, exec_lo, s63
	s_trap 2
	ds_read_b64 v[50:51], v0
	s_waitcnt lgkmcnt(0)
	buffer_gl0_inv
	v_add_co_u32 v12, vcc_lo, v12, v81
	v_add_co_ci_u32_e64 v13, null, 0, v13, vcc_lo
	s_mov_b32 s63, exec_lo
	v_cmpx_lt_u64_e64 v[50:51], v[12:13]
	s_cbranch_execz .LBB2_384
; %bb.376:                              ;   in Loop: Header=BB2_274 Depth=3
	s_mov_b32 s72, 0
	s_mov_b32 s75, 0
                                        ; implicit-def: $sgpr73
                                        ; implicit-def: $sgpr74
	s_inst_prefetch 0x1
	s_branch .LBB2_378
	.p2align	6
.LBB2_377:                              ;   in Loop: Header=BB2_378 Depth=4
	s_or_b32 exec_lo, exec_lo, s77
	s_and_b32 s76, exec_lo, s78
	s_or_b32 s72, s76, s72
	s_andn2_b32 s73, s73, exec_lo
	s_and_b32 s76, s74, exec_lo
	s_or_b32 s73, s73, s76
	s_andn2_b32 exec_lo, exec_lo, s72
	s_cbranch_execz .LBB2_382
.LBB2_378:                              ;   Parent Loop BB2_47 Depth=1
                                        ;     Parent Loop BB2_271 Depth=2
                                        ;       Parent Loop BB2_274 Depth=3
                                        ; =>      This Inner Loop Header: Depth=4
	s_add_i32 s75, s75, 1
	s_cmpk_lg_i32 s75, 0x2710
	s_cselect_b32 s76, -1, 0
	s_and_b32 vcc_lo, exec_lo, s76
	s_cbranch_vccz .LBB2_380
; %bb.379:                              ;   in Loop: Header=BB2_378 Depth=4
	s_mov_b32 s78, -1
	s_or_b32 s74, s74, exec_lo
	s_and_saveexec_b32 s77, s76
	s_cbranch_execz .LBB2_377
	s_branch .LBB2_381
	.p2align	6
.LBB2_380:                              ;   in Loop: Header=BB2_378 Depth=4
	s_trap 2
	ds_read_b64 v[50:51], v0
	s_andn2_b32 s76, s76, exec_lo
	s_mov_b32 s75, 0
	s_waitcnt lgkmcnt(0)
	flat_load_dword v3, v[50:51] glc dlc
	s_waitcnt vmcnt(0) lgkmcnt(0)
	buffer_gl1_inv
	buffer_gl0_inv
	v_cmp_eq_u32_e32 vcc_lo, 0, v3
	s_and_b32 s77, vcc_lo, exec_lo
	s_or_b32 s76, s76, s77
	s_mov_b32 s78, -1
	s_or_b32 s74, s74, exec_lo
	s_and_saveexec_b32 s77, s76
	s_cbranch_execz .LBB2_377
.LBB2_381:                              ;   in Loop: Header=BB2_378 Depth=4
	s_sleep 1
	s_trap 2
	ds_read_b64 v[50:51], v0
	s_waitcnt lgkmcnt(0)
	buffer_gl0_inv
	s_andn2_b32 s74, s74, exec_lo
	v_cmp_ge_u64_e32 vcc_lo, v[50:51], v[12:13]
	s_orn2_b32 s78, vcc_lo, exec_lo
	s_branch .LBB2_377
.LBB2_382:                              ;   in Loop: Header=BB2_274 Depth=3
	s_inst_prefetch 0x2
	s_or_b32 exec_lo, exec_lo, s72
	s_and_saveexec_b32 s72, s73
	s_xor_b32 s72, exec_lo, s72
	s_cbranch_execz .LBB2_384
; %bb.383:                              ;   in Loop: Header=BB2_274 Depth=3
	ds_write_b32 v0, v84
	s_trap 2
.LBB2_384:                              ;   in Loop: Header=BB2_274 Depth=3
	s_or_b32 exec_lo, exec_lo, s63
	;;#ASMSTART
	s_wakeup
	;;#ASMEND
.LBB2_385:                              ;   in Loop: Header=BB2_274 Depth=3
	s_or_b32 exec_lo, exec_lo, s62
.LBB2_386:                              ;   in Loop: Header=BB2_274 Depth=3
	s_andn2_saveexec_b32 s61, s61
	s_cbranch_execz .LBB2_388
; %bb.387:                              ;   in Loop: Header=BB2_274 Depth=3
	s_waitcnt vmcnt(0) lgkmcnt(0)
	s_waitcnt_vscnt null, 0x0
	buffer_gl1_inv
	buffer_gl0_inv
	s_barrier
.LBB2_388:                              ;   in Loop: Header=BB2_274 Depth=3
	s_or_b32 exec_lo, exec_lo, s61
.LBB2_389:                              ;   in Loop: Header=BB2_274 Depth=3
	s_or_b32 exec_lo, exec_lo, s17
	v_and_b32_e32 v3, 16, v71
	s_and_saveexec_b32 s17, s12
	s_xor_b32 s17, exec_lo, s17
	s_cbranch_execz .LBB2_393
; %bb.390:                              ;   in Loop: Header=BB2_274 Depth=3
	v_and_b32_e32 v3, 16, v71
	v_cmp_ne_u32_e32 vcc_lo, 0, v3
	v_and_b32_e32 v3, 16, v71
	s_and_b32 s61, vcc_lo, s16
	s_and_saveexec_b32 s16, s61
	s_cbranch_execz .LBB2_392
; %bb.391:                              ;   in Loop: Header=BB2_274 Depth=3
	v_mov_b32_e32 v3, 1
	s_waitcnt vmcnt(0) lgkmcnt(0)
	s_waitcnt_vscnt null, 0x0
	buffer_gl1_inv
	buffer_gl0_inv
.LBB2_392:                              ;   in Loop: Header=BB2_274 Depth=3
	s_or_b32 exec_lo, exec_lo, s16
.LBB2_393:                              ;   in Loop: Header=BB2_274 Depth=3
	s_andn2_saveexec_b32 s16, s17
	s_cbranch_execz .LBB2_412
; %bb.394:                              ;   in Loop: Header=BB2_274 Depth=3
	s_and_saveexec_b32 s17, s29
	s_xor_b32 s17, exec_lo, s17
	s_cbranch_execz .LBB2_409
; %bb.395:                              ;   in Loop: Header=BB2_274 Depth=3
	s_and_saveexec_b32 s61, s11
	s_cbranch_execz .LBB2_408
; %bb.396:                              ;   in Loop: Header=BB2_274 Depth=3
	s_mov_b32 s63, exec_lo
	s_mov_b32 s62, exec_lo
	v_mbcnt_lo_u32_b32 v9, s63, 0
	;;#ASMSTART
	s_waitcnt lgkmcnt(0) vmcnt(0)
	;;#ASMEND
	v_cmpx_eq_u32_e32 0, v9
	s_cbranch_execz .LBB2_398
; %bb.397:                              ;   in Loop: Header=BB2_274 Depth=3
	s_bcnt1_i32_b32 s63, s63
	v_mov_b32_e32 v51, v2
	v_mov_b32_e32 v50, s63
	s_waitcnt vmcnt(0) lgkmcnt(0)
	s_waitcnt_vscnt null, 0x0
	ds_add_u64 v0, v[50:51]
	s_trap 2
.LBB2_398:                              ;   in Loop: Header=BB2_274 Depth=3
	s_or_b32 exec_lo, exec_lo, s62
	s_trap 2
	ds_read_b64 v[50:51], v0
	s_waitcnt vmcnt(0) lgkmcnt(0)
	buffer_gl0_inv
	v_add_co_u32 v12, vcc_lo, v12, v81
	v_add_co_ci_u32_e64 v13, null, 0, v13, vcc_lo
	s_mov_b32 s62, exec_lo
	v_cmpx_lt_u64_e64 v[50:51], v[12:13]
	s_cbranch_execz .LBB2_407
; %bb.399:                              ;   in Loop: Header=BB2_274 Depth=3
	s_mov_b32 s63, 0
	s_mov_b32 s74, 0
                                        ; implicit-def: $sgpr72
                                        ; implicit-def: $sgpr73
	s_inst_prefetch 0x1
	s_branch .LBB2_401
	.p2align	6
.LBB2_400:                              ;   in Loop: Header=BB2_401 Depth=4
	s_or_b32 exec_lo, exec_lo, s76
	s_and_b32 s75, exec_lo, s77
	s_or_b32 s63, s75, s63
	s_andn2_b32 s72, s72, exec_lo
	s_and_b32 s75, s73, exec_lo
	s_or_b32 s72, s72, s75
	s_andn2_b32 exec_lo, exec_lo, s63
	s_cbranch_execz .LBB2_405
.LBB2_401:                              ;   Parent Loop BB2_47 Depth=1
                                        ;     Parent Loop BB2_271 Depth=2
                                        ;       Parent Loop BB2_274 Depth=3
                                        ; =>      This Inner Loop Header: Depth=4
	s_add_i32 s74, s74, 1
	s_cmpk_lg_i32 s74, 0x2710
	s_cselect_b32 s75, -1, 0
	s_and_b32 vcc_lo, exec_lo, s75
	s_cbranch_vccz .LBB2_403
; %bb.402:                              ;   in Loop: Header=BB2_401 Depth=4
	s_mov_b32 s77, -1
	s_or_b32 s73, s73, exec_lo
	s_and_saveexec_b32 s76, s75
	s_cbranch_execz .LBB2_400
	s_branch .LBB2_404
	.p2align	6
.LBB2_403:                              ;   in Loop: Header=BB2_401 Depth=4
	s_trap 2
	ds_read_b64 v[50:51], v0
	s_andn2_b32 s75, s75, exec_lo
	s_mov_b32 s74, 0
	s_waitcnt lgkmcnt(0)
	s_waitcnt_vscnt null, 0x0
	flat_load_dword v9, v[50:51] glc dlc
	s_waitcnt vmcnt(0) lgkmcnt(0)
	buffer_gl1_inv
	buffer_gl0_inv
	v_cmp_eq_u32_e32 vcc_lo, 0, v9
	s_and_b32 s76, vcc_lo, exec_lo
	s_or_b32 s75, s75, s76
	s_mov_b32 s77, -1
	s_or_b32 s73, s73, exec_lo
	s_and_saveexec_b32 s76, s75
	s_cbranch_execz .LBB2_400
.LBB2_404:                              ;   in Loop: Header=BB2_401 Depth=4
	s_sleep 1
	s_trap 2
	ds_read_b64 v[50:51], v0
	s_waitcnt lgkmcnt(0)
	buffer_gl0_inv
	s_andn2_b32 s73, s73, exec_lo
	v_cmp_ge_u64_e32 vcc_lo, v[50:51], v[12:13]
	s_orn2_b32 s77, vcc_lo, exec_lo
	s_branch .LBB2_400
.LBB2_405:                              ;   in Loop: Header=BB2_274 Depth=3
	s_inst_prefetch 0x2
	s_or_b32 exec_lo, exec_lo, s63
	s_and_saveexec_b32 s63, s72
	s_xor_b32 s63, exec_lo, s63
	s_cbranch_execz .LBB2_407
; %bb.406:                              ;   in Loop: Header=BB2_274 Depth=3
	ds_write_b32 v0, v84
	s_trap 2
.LBB2_407:                              ;   in Loop: Header=BB2_274 Depth=3
	s_or_b32 exec_lo, exec_lo, s62
	;;#ASMSTART
	s_wakeup
	;;#ASMEND
.LBB2_408:                              ;   in Loop: Header=BB2_274 Depth=3
	s_or_b32 exec_lo, exec_lo, s61
.LBB2_409:                              ;   in Loop: Header=BB2_274 Depth=3
	s_andn2_saveexec_b32 s17, s17
	s_cbranch_execz .LBB2_411
; %bb.410:                              ;   in Loop: Header=BB2_274 Depth=3
	;;#ASMSTART
	s_waitcnt lgkmcnt(0) vmcnt(0)
	;;#ASMEND
	s_barrier
.LBB2_411:                              ;   in Loop: Header=BB2_274 Depth=3
	s_or_b32 exec_lo, exec_lo, s17
.LBB2_412:                              ;   in Loop: Header=BB2_274 Depth=3
	s_or_b32 exec_lo, exec_lo, s16
	v_cmp_ne_u32_e32 vcc_lo, 0, v3
	s_xor_b32 s16, s7, -1
	s_and_b32 s17, vcc_lo, s16
	s_and_saveexec_b32 s16, s17
	s_cbranch_execz .LBB2_414
; %bb.413:                              ;   in Loop: Header=BB2_274 Depth=3
	s_waitcnt vmcnt(0) lgkmcnt(0)
	s_waitcnt_vscnt null, 0x0
	flat_store_dword v[24:25], v84
.LBB2_414:                              ;   in Loop: Header=BB2_274 Depth=3
	s_or_b32 exec_lo, exec_lo, s16
	v_and_b32_e32 v3, 48, v71
	s_mov_b32 s16, exec_lo
	v_cmpx_ne_u32_e32 0, v3
	s_cbranch_execz .LBB2_273
; %bb.415:                              ;   in Loop: Header=BB2_274 Depth=3
	v_add_co_u32 v38, vcc_lo, v38, 2
	v_add_co_ci_u32_e64 v39, null, 0, v39, vcc_lo
	s_waitcnt vmcnt(0) lgkmcnt(0)
	s_waitcnt_vscnt null, 0x0
	flat_store_dwordx2 v[20:21], v[38:39]
	s_branch .LBB2_273
.LBB2_416:                              ;   in Loop: Header=BB2_271 Depth=2
	s_or_b32 exec_lo, exec_lo, s21
.LBB2_417:                              ;   in Loop: Header=BB2_271 Depth=2
	s_or_b32 exec_lo, exec_lo, s19
	s_mov_b32 s17, exec_lo
	v_cmpx_gt_i32_e32 2, v3
	s_cbranch_execz .LBB2_270
; %bb.418:                              ;   in Loop: Header=BB2_271 Depth=2
	v_cmp_eq_u32_e64 s21, 0, v3
	s_mov_b32 s19, 0
	s_branch .LBB2_420
.LBB2_419:                              ;   in Loop: Header=BB2_420 Depth=3
	s_or_b32 exec_lo, exec_lo, s16
	v_add_nc_u32_e32 v69, v8, v69
	s_mov_b32 s21, 0
	s_andn2_b32 exec_lo, exec_lo, s19
	s_cbranch_execz .LBB2_269
.LBB2_420:                              ;   Parent Loop BB2_47 Depth=1
                                        ;     Parent Loop BB2_271 Depth=2
                                        ; =>    This Loop Header: Depth=3
                                        ;         Child Loop BB2_426 Depth 4
                                        ;         Child Loop BB2_454 Depth 4
	;; [unrolled: 1-line block ×3, first 2 shown]
	v_sub_nc_u32_e32 v3, v68, v69
	v_and_b32_e32 v9, 12, v71
	s_mov_b32 s22, exec_lo
	v_min_i32_e32 v8, v8, v3
	v_cmpx_ne_u32_e32 0, v9
	s_cbranch_execz .LBB2_446
; %bb.421:                              ;   in Loop: Header=BB2_420 Depth=3
	v_and_b32_e32 v3, 8, v71
	s_mov_b32 s23, exec_lo
	s_waitcnt vmcnt(0) lgkmcnt(1)
	v_add_co_u32 v50, vcc_lo, v26, v3
	v_add_co_ci_u32_e64 v51, null, 0, v27, vcc_lo
	v_add_co_u32 v10, vcc_lo, v38, 2
	v_add_co_ci_u32_e64 v11, null, 0, v39, vcc_lo
	v_cmpx_lt_u64_e64 v[50:51], v[10:11]
	s_cbranch_execz .LBB2_433
; %bb.422:                              ;   in Loop: Header=BB2_420 Depth=3
	v_and_b32_e32 v9, 64, v71
	s_mov_b32 s61, 0
	s_mov_b32 s73, 0
                                        ; implicit-def: $sgpr62
                                        ; implicit-def: $sgpr63
                                        ; implicit-def: $sgpr72
	v_cmp_eq_u32_e32 vcc_lo, 0, v9
	s_branch .LBB2_426
.LBB2_423:                              ;   in Loop: Header=BB2_426 Depth=4
	s_waitcnt vmcnt(0) lgkmcnt(0)
	v_add_co_u32 v50, s16, v26, v3
	v_add_co_ci_u32_e64 v51, null, 0, v27, s16
	s_or_b32 s76, s76, exec_lo
	v_cmp_ge_u64_e64 s16, v[50:51], v[10:11]
	s_orn2_b32 s75, s16, exec_lo
.LBB2_424:                              ;   in Loop: Header=BB2_426 Depth=4
	s_or_b32 exec_lo, exec_lo, s78
	s_andn2_b32 s16, s72, exec_lo
	s_and_b32 s72, s76, exec_lo
	s_andn2_b32 s63, s63, exec_lo
	s_and_b32 s75, s75, exec_lo
	s_or_b32 s72, s16, s72
	s_or_b32 s63, s63, s75
.LBB2_425:                              ;   in Loop: Header=BB2_426 Depth=4
	s_or_b32 exec_lo, exec_lo, s74
	s_and_b32 s16, exec_lo, s63
	s_or_b32 s61, s16, s61
	s_andn2_b32 s16, s62, exec_lo
	s_and_b32 s62, s72, exec_lo
	s_or_b32 s62, s16, s62
	s_andn2_b32 exec_lo, exec_lo, s61
	s_cbranch_execz .LBB2_430
.LBB2_426:                              ;   Parent Loop BB2_47 Depth=1
                                        ;     Parent Loop BB2_271 Depth=2
                                        ;       Parent Loop BB2_420 Depth=3
                                        ; =>      This Inner Loop Header: Depth=4
	s_sleep 1
	s_waitcnt vmcnt(0) lgkmcnt(0)
	flat_load_dwordx2 v[26:27], v[20:21] glc dlc
	s_or_b32 s72, s72, exec_lo
	s_or_b32 s63, s63, exec_lo
                                        ; implicit-def: $vgpr9
	s_and_saveexec_b32 s74, vcc_lo
	s_cbranch_execz .LBB2_425
; %bb.427:                              ;   in Loop: Header=BB2_426 Depth=4
	s_cmpk_lt_i32 s73, 0x270f
	s_mov_b32 s75, -1
	s_cselect_b32 s77, -1, 0
	s_cmpk_gt_i32 s73, 0x270e
	s_cbranch_scc0 .LBB2_429
; %bb.428:                              ;   in Loop: Header=BB2_426 Depth=4
	s_trap 2
	ds_read_b64 v[50:51], v0
	s_andn2_b32 s73, s77, exec_lo
	s_mov_b32 s76, 0
	s_waitcnt vmcnt(0) lgkmcnt(0)
	s_waitcnt_vscnt null, 0x0
	flat_load_dword v9, v[50:51] glc dlc
	s_waitcnt vmcnt(0) lgkmcnt(0)
	buffer_gl1_inv
	buffer_gl0_inv
	v_cmp_eq_u32_e64 s16, 0, v9
	s_and_b32 s16, s16, exec_lo
	s_or_b32 s77, s73, s16
	s_mov_b32 s73, 0
	s_and_saveexec_b32 s78, s77
	s_cbranch_execz .LBB2_424
	s_branch .LBB2_423
.LBB2_429:                              ;   in Loop: Header=BB2_426 Depth=4
	s_add_i32 s73, s73, 1
	s_mov_b32 s76, -1
                                        ; implicit-def: $vgpr9
	s_and_saveexec_b32 s78, s77
	s_cbranch_execz .LBB2_424
	s_branch .LBB2_423
.LBB2_430:                              ;   in Loop: Header=BB2_420 Depth=3
	s_or_b32 exec_lo, exec_lo, s61
	s_xor_b32 s16, s62, -1
	s_and_saveexec_b32 s61, s16
	s_xor_b32 s16, exec_lo, s61
	s_cbranch_execz .LBB2_432
; %bb.431:                              ;   in Loop: Header=BB2_420 Depth=3
	v_or_b32_e32 v71, 64, v71
	s_waitcnt vmcnt(0) lgkmcnt(0)
	s_waitcnt_vscnt null, 0x0
	ds_write_b32 v0, v9
	s_trap 2
.LBB2_432:                              ;   in Loop: Header=BB2_420 Depth=3
	s_or_b32 exec_lo, exec_lo, s16
.LBB2_433:                              ;   in Loop: Header=BB2_420 Depth=3
	s_or_b32 exec_lo, exec_lo, s23
	v_and_b32_e32 v9, 0x108, v71
	s_mov_b32 s16, exec_lo
	;;#ASMSTART
	s_wakeup
	;;#ASMEND
                                        ; implicit-def: $vgpr50_vgpr51
	v_cmpx_ne_u32_e32 0x108, v9
	s_xor_b32 s16, exec_lo, s16
; %bb.434:                              ;   in Loop: Header=BB2_420 Depth=3
	v_and_b32_e32 v50, 7, v38
	v_mov_b32_e32 v51, v2
                                        ; implicit-def: $vgpr38_vgpr39
; %bb.435:                              ;   in Loop: Header=BB2_420 Depth=3
	s_andn2_saveexec_b32 s16, s16
	s_cbranch_execz .LBB2_437
; %bb.436:                              ;   in Loop: Header=BB2_420 Depth=3
	v_and_b32_e32 v50, 7, v38
	v_ashrrev_i32_e32 v9, 31, v8
	v_mov_b32_e32 v51, v2
	v_mad_u64_u32 v[38:39], null, v50, 24, v[6:7]
	flat_store_dwordx2 v[38:39], v[8:9] offset:8
.LBB2_437:                              ;   in Loop: Header=BB2_420 Depth=3
	s_or_b32 exec_lo, exec_lo, s16
	v_and_b32_e32 v9, 0x100, v71
	s_mov_b32 s16, -1
	s_mov_b32 s23, exec_lo
                                        ; implicit-def: $vgpr38_vgpr39
	v_cmpx_ne_u32_e32 0, v9
	s_cbranch_execz .LBB2_441
; %bb.438:                              ;   in Loop: Header=BB2_420 Depth=3
	v_mad_u64_u32 v[52:53], null, v50, 24, v[6:7]
	s_mov_b32 s61, exec_lo
	v_mov_b32_e32 v9, v53
	v_mad_u64_u32 v[38:39], null, v51, 24, v[9:10]
	v_mov_b32_e32 v53, v38
                                        ; implicit-def: $vgpr38_vgpr39
	flat_load_dword v9, v[52:53]
	s_waitcnt vmcnt(0) lgkmcnt(0)
	v_cmp_ne_u32_e32 vcc_lo, 1, v9
	v_cmpx_eq_u32_e32 1, v9
	s_cbranch_execz .LBB2_440
; %bb.439:                              ;   in Loop: Header=BB2_420 Depth=3
	flat_load_dword v38, v[52:53] offset:4 glc dlc
	s_waitcnt vmcnt(0) lgkmcnt(0)
	v_ashrrev_i32_e32 v39, 31, v38
.LBB2_440:                              ;   in Loop: Header=BB2_420 Depth=3
	s_or_b32 exec_lo, exec_lo, s61
	s_orn2_b32 s16, vcc_lo, exec_lo
.LBB2_441:                              ;   in Loop: Header=BB2_420 Depth=3
	s_or_b32 exec_lo, exec_lo, s23
	s_and_saveexec_b32 s23, s16
; %bb.442:                              ;   in Loop: Header=BB2_420 Depth=3
	v_mul_lo_u32 v9, v51, v80
	v_mul_lo_u32 v51, v50, v30
	v_mad_u64_u32 v[38:39], null, v50, v80, 0
	v_add3_u32 v39, v39, v51, v9
; %bb.443:                              ;   in Loop: Header=BB2_420 Depth=3
	s_or_b32 exec_lo, exec_lo, s23
	v_cmp_eq_u32_e32 vcc_lo, 0, v3
	v_and_b32_e32 v9, 0x2000, v71
	s_mov_b32 s16, exec_lo
	v_cndmask_b32_e32 v3, 0xc8, v85, vcc_lo
	v_add_co_u32 v38, vcc_lo, v22, v38
	v_add_co_ci_u32_e64 v39, null, v23, v39, vcc_lo
	v_add_nc_u32_e32 v3, v0, v3
	ds_write_b64 v3, v[38:39] offset:584
	v_cmpx_ne_u32_e32 0, v9
	s_cbranch_execz .LBB2_445
; %bb.444:                              ;   in Loop: Header=BB2_420 Depth=3
	ds_read_b64 v[38:39], v0 offset:872
	s_waitcnt lgkmcnt(0)
	v_add_co_u32 v38, vcc_lo, v38, 1
	v_add_co_ci_u32_e64 v39, null, 0, v39, vcc_lo
	ds_write_b64 v0, v[38:39] offset:872
.LBB2_445:                              ;   in Loop: Header=BB2_420 Depth=3
	s_or_b32 exec_lo, exec_lo, s16
	v_mov_b32_e32 v39, v11
	v_mov_b32_e32 v38, v10
.LBB2_446:                              ;   in Loop: Header=BB2_420 Depth=3
	s_or_b32 exec_lo, exec_lo, s22
	s_xor_b32 s16, s21, -1
	s_and_b32 s16, exec_lo, s16
	s_or_b32 s19, s16, s19
	s_and_saveexec_b32 s16, s6
	s_cbranch_execz .LBB2_465
; %bb.447:                              ;   in Loop: Header=BB2_420 Depth=3
	s_and_saveexec_b32 s21, s29
	s_xor_b32 s21, exec_lo, s21
	s_cbranch_execz .LBB2_462
; %bb.448:                              ;   in Loop: Header=BB2_420 Depth=3
	s_and_saveexec_b32 s22, s11
	s_cbranch_execz .LBB2_461
; %bb.449:                              ;   in Loop: Header=BB2_420 Depth=3
	s_mov_b32 s61, exec_lo
	s_mov_b32 s23, exec_lo
	v_mbcnt_lo_u32_b32 v3, s61, 0
	s_waitcnt vmcnt(0) lgkmcnt(0)
	s_waitcnt_vscnt null, 0x0
	buffer_gl1_inv
	buffer_gl0_inv
	v_cmpx_eq_u32_e32 0, v3
	s_cbranch_execz .LBB2_451
; %bb.450:                              ;   in Loop: Header=BB2_420 Depth=3
	s_bcnt1_i32_b32 s61, s61
	v_mov_b32_e32 v10, v2
	v_mov_b32_e32 v9, s61
	ds_add_u64 v0, v[9:10]
	s_trap 2
.LBB2_451:                              ;   in Loop: Header=BB2_420 Depth=3
	s_or_b32 exec_lo, exec_lo, s23
	s_trap 2
	ds_read_b64 v[9:10], v0
	s_waitcnt lgkmcnt(0)
	buffer_gl0_inv
	v_add_co_u32 v12, vcc_lo, v12, v81
	v_add_co_ci_u32_e64 v13, null, 0, v13, vcc_lo
	s_mov_b32 s23, exec_lo
	v_cmpx_lt_u64_e64 v[9:10], v[12:13]
	s_cbranch_execz .LBB2_460
; %bb.452:                              ;   in Loop: Header=BB2_420 Depth=3
	s_mov_b32 s61, 0
	s_mov_b32 s72, 0
                                        ; implicit-def: $sgpr62
                                        ; implicit-def: $sgpr63
	s_inst_prefetch 0x1
	s_branch .LBB2_454
	.p2align	6
.LBB2_453:                              ;   in Loop: Header=BB2_454 Depth=4
	s_or_b32 exec_lo, exec_lo, s74
	s_and_b32 s73, exec_lo, s75
	s_or_b32 s61, s73, s61
	s_andn2_b32 s62, s62, exec_lo
	s_and_b32 s73, s63, exec_lo
	s_or_b32 s62, s62, s73
	s_andn2_b32 exec_lo, exec_lo, s61
	s_cbranch_execz .LBB2_458
.LBB2_454:                              ;   Parent Loop BB2_47 Depth=1
                                        ;     Parent Loop BB2_271 Depth=2
                                        ;       Parent Loop BB2_420 Depth=3
                                        ; =>      This Inner Loop Header: Depth=4
	s_add_i32 s72, s72, 1
	s_cmpk_lg_i32 s72, 0x2710
	s_cselect_b32 s73, -1, 0
	s_and_b32 vcc_lo, exec_lo, s73
	s_cbranch_vccz .LBB2_456
; %bb.455:                              ;   in Loop: Header=BB2_454 Depth=4
	s_mov_b32 s75, -1
	s_or_b32 s63, s63, exec_lo
	s_and_saveexec_b32 s74, s73
	s_cbranch_execz .LBB2_453
	s_branch .LBB2_457
	.p2align	6
.LBB2_456:                              ;   in Loop: Header=BB2_454 Depth=4
	s_trap 2
	ds_read_b64 v[9:10], v0
	s_andn2_b32 s73, s73, exec_lo
	s_mov_b32 s72, 0
	s_waitcnt lgkmcnt(0)
	flat_load_dword v3, v[9:10] glc dlc
	s_waitcnt vmcnt(0) lgkmcnt(0)
	buffer_gl1_inv
	buffer_gl0_inv
	v_cmp_eq_u32_e32 vcc_lo, 0, v3
	s_and_b32 s74, vcc_lo, exec_lo
	s_or_b32 s73, s73, s74
	s_mov_b32 s75, -1
	s_or_b32 s63, s63, exec_lo
	s_and_saveexec_b32 s74, s73
	s_cbranch_execz .LBB2_453
.LBB2_457:                              ;   in Loop: Header=BB2_454 Depth=4
	s_sleep 1
	s_trap 2
	ds_read_b64 v[9:10], v0
	s_waitcnt lgkmcnt(0)
	buffer_gl0_inv
	s_andn2_b32 s63, s63, exec_lo
	v_cmp_ge_u64_e32 vcc_lo, v[9:10], v[12:13]
	s_orn2_b32 s75, vcc_lo, exec_lo
	s_branch .LBB2_453
.LBB2_458:                              ;   in Loop: Header=BB2_420 Depth=3
	s_inst_prefetch 0x2
	s_or_b32 exec_lo, exec_lo, s61
	s_and_saveexec_b32 s61, s62
	s_xor_b32 s61, exec_lo, s61
	s_cbranch_execz .LBB2_460
; %bb.459:                              ;   in Loop: Header=BB2_420 Depth=3
	ds_write_b32 v0, v84
	s_trap 2
.LBB2_460:                              ;   in Loop: Header=BB2_420 Depth=3
	s_or_b32 exec_lo, exec_lo, s23
	;;#ASMSTART
	s_wakeup
	;;#ASMEND
.LBB2_461:                              ;   in Loop: Header=BB2_420 Depth=3
	s_or_b32 exec_lo, exec_lo, s22
.LBB2_462:                              ;   in Loop: Header=BB2_420 Depth=3
	s_andn2_saveexec_b32 s21, s21
	s_cbranch_execz .LBB2_464
; %bb.463:                              ;   in Loop: Header=BB2_420 Depth=3
	s_waitcnt vmcnt(0) lgkmcnt(0)
	s_waitcnt_vscnt null, 0x0
	buffer_gl1_inv
	buffer_gl0_inv
	s_barrier
.LBB2_464:                              ;   in Loop: Header=BB2_420 Depth=3
	s_or_b32 exec_lo, exec_lo, s21
.LBB2_465:                              ;   in Loop: Header=BB2_420 Depth=3
	s_or_b32 exec_lo, exec_lo, s16
                                        ; implicit-def: $vgpr3
	s_and_saveexec_b32 s16, s47
	s_xor_b32 s16, exec_lo, s16
	s_cbranch_execz .LBB2_477
; %bb.466:                              ;   in Loop: Header=BB2_420 Depth=3
	s_and_saveexec_b32 s21, s29
	s_xor_b32 s21, exec_lo, s21
	s_cbranch_execz .LBB2_482
; %bb.467:                              ;   in Loop: Header=BB2_420 Depth=3
	s_and_saveexec_b32 s22, s11
	s_cbranch_execz .LBB2_481
; %bb.468:                              ;   in Loop: Header=BB2_420 Depth=3
	s_mov_b32 s61, exec_lo
	s_mov_b32 s23, exec_lo
	v_mbcnt_lo_u32_b32 v3, s61, 0
	;;#ASMSTART
	s_waitcnt lgkmcnt(0) vmcnt(0)
	;;#ASMEND
	v_cmpx_eq_u32_e32 0, v3
	s_cbranch_execz .LBB2_470
; %bb.469:                              ;   in Loop: Header=BB2_420 Depth=3
	s_bcnt1_i32_b32 s61, s61
	v_mov_b32_e32 v10, v2
	v_mov_b32_e32 v9, s61
	s_waitcnt vmcnt(0) lgkmcnt(0)
	s_waitcnt_vscnt null, 0x0
	ds_add_u64 v0, v[9:10]
	s_trap 2
.LBB2_470:                              ;   in Loop: Header=BB2_420 Depth=3
	s_or_b32 exec_lo, exec_lo, s23
	s_trap 2
	ds_read_b64 v[9:10], v0
	s_waitcnt vmcnt(0) lgkmcnt(0)
	buffer_gl0_inv
	v_add_co_u32 v12, vcc_lo, v12, v81
	v_add_co_ci_u32_e64 v13, null, 0, v13, vcc_lo
	s_mov_b32 s23, exec_lo
	v_cmpx_lt_u64_e64 v[9:10], v[12:13]
	s_cbranch_execz .LBB2_480
; %bb.471:                              ;   in Loop: Header=BB2_420 Depth=3
	s_mov_b32 s61, 0
	s_mov_b32 s72, 0
                                        ; implicit-def: $sgpr62
                                        ; implicit-def: $sgpr63
	s_inst_prefetch 0x1
	s_branch .LBB2_473
	.p2align	6
.LBB2_472:                              ;   in Loop: Header=BB2_473 Depth=4
	s_or_b32 exec_lo, exec_lo, s74
	s_and_b32 s73, exec_lo, s75
	s_or_b32 s61, s73, s61
	s_andn2_b32 s62, s62, exec_lo
	s_and_b32 s73, s63, exec_lo
	s_or_b32 s62, s62, s73
	s_andn2_b32 exec_lo, exec_lo, s61
	s_cbranch_execz .LBB2_478
.LBB2_473:                              ;   Parent Loop BB2_47 Depth=1
                                        ;     Parent Loop BB2_271 Depth=2
                                        ;       Parent Loop BB2_420 Depth=3
                                        ; =>      This Inner Loop Header: Depth=4
	s_add_i32 s72, s72, 1
	s_cmpk_lg_i32 s72, 0x2710
	s_cselect_b32 s73, -1, 0
	s_and_b32 vcc_lo, exec_lo, s73
	s_cbranch_vccz .LBB2_475
; %bb.474:                              ;   in Loop: Header=BB2_473 Depth=4
	s_mov_b32 s75, -1
	s_or_b32 s63, s63, exec_lo
	s_and_saveexec_b32 s74, s73
	s_cbranch_execz .LBB2_472
	s_branch .LBB2_476
	.p2align	6
.LBB2_475:                              ;   in Loop: Header=BB2_473 Depth=4
	s_trap 2
	ds_read_b64 v[9:10], v0
	s_andn2_b32 s73, s73, exec_lo
	s_mov_b32 s72, 0
	s_waitcnt lgkmcnt(0)
	s_waitcnt_vscnt null, 0x0
	flat_load_dword v3, v[9:10] glc dlc
	s_waitcnt vmcnt(0) lgkmcnt(0)
	buffer_gl1_inv
	buffer_gl0_inv
	v_cmp_eq_u32_e32 vcc_lo, 0, v3
	s_and_b32 s74, vcc_lo, exec_lo
	s_or_b32 s73, s73, s74
	s_mov_b32 s75, -1
	s_or_b32 s63, s63, exec_lo
	s_and_saveexec_b32 s74, s73
	s_cbranch_execz .LBB2_472
.LBB2_476:                              ;   in Loop: Header=BB2_473 Depth=4
	s_sleep 1
	s_trap 2
	ds_read_b64 v[9:10], v0
	s_waitcnt lgkmcnt(0)
	buffer_gl0_inv
	s_andn2_b32 s63, s63, exec_lo
	v_cmp_ge_u64_e32 vcc_lo, v[9:10], v[12:13]
	s_orn2_b32 s75, vcc_lo, exec_lo
	s_branch .LBB2_472
.LBB2_477:                              ;   in Loop: Header=BB2_420 Depth=3
	s_andn2_saveexec_b32 s21, s16
	s_cbranch_execnz .LBB2_485
	s_branch .LBB2_488
.LBB2_478:                              ;   in Loop: Header=BB2_420 Depth=3
	s_inst_prefetch 0x2
	s_or_b32 exec_lo, exec_lo, s61
	s_and_saveexec_b32 s61, s62
	s_xor_b32 s61, exec_lo, s61
	s_cbranch_execz .LBB2_480
; %bb.479:                              ;   in Loop: Header=BB2_420 Depth=3
	ds_write_b32 v0, v84
	s_trap 2
.LBB2_480:                              ;   in Loop: Header=BB2_420 Depth=3
	s_or_b32 exec_lo, exec_lo, s23
	;;#ASMSTART
	s_wakeup
	;;#ASMEND
.LBB2_481:                              ;   in Loop: Header=BB2_420 Depth=3
	s_or_b32 exec_lo, exec_lo, s22
.LBB2_482:                              ;   in Loop: Header=BB2_420 Depth=3
	s_andn2_saveexec_b32 s21, s21
	s_cbranch_execz .LBB2_484
; %bb.483:                              ;   in Loop: Header=BB2_420 Depth=3
	;;#ASMSTART
	s_waitcnt lgkmcnt(0) vmcnt(0)
	;;#ASMEND
	s_barrier
.LBB2_484:                              ;   in Loop: Header=BB2_420 Depth=3
	s_or_b32 exec_lo, exec_lo, s21
	v_and_b32_e32 v3, 16, v71
	s_andn2_saveexec_b32 s21, s16
	s_cbranch_execz .LBB2_488
.LBB2_485:                              ;   in Loop: Header=BB2_420 Depth=3
	s_trap 2
	ds_read_b32 v3, v0
	v_cmp_lt_i32_e32 vcc_lo, 0, v8
	s_waitcnt lgkmcnt(0)
	v_readfirstlane_b32 s16, v3
	v_and_b32_e32 v3, 16, v71
	s_cmp_eq_u32 s16, 0
	v_cmp_ne_u32_e64 s16, 0, v3
	s_cselect_b32 s22, -1, 0
	v_and_b32_e32 v3, 16, v71
	s_and_b32 s22, vcc_lo, s22
	s_and_b32 s22, s16, s22
	s_and_saveexec_b32 s16, s22
	s_cbranch_execz .LBB2_487
; %bb.486:                              ;   in Loop: Header=BB2_420 Depth=3
	v_mov_b32_e32 v3, 1
	s_waitcnt vmcnt(0)
	s_waitcnt_vscnt null, 0x0
	buffer_gl1_inv
	buffer_gl0_inv
.LBB2_487:                              ;   in Loop: Header=BB2_420 Depth=3
	s_or_b32 exec_lo, exec_lo, s16
.LBB2_488:                              ;   in Loop: Header=BB2_420 Depth=3
	s_or_b32 exec_lo, exec_lo, s21
	v_cmp_ne_u32_e32 vcc_lo, 0, v3
	s_xor_b32 s16, s7, -1
	s_and_b32 s21, vcc_lo, s16
	s_and_saveexec_b32 s16, s21
	s_cbranch_execz .LBB2_490
; %bb.489:                              ;   in Loop: Header=BB2_420 Depth=3
	s_waitcnt vmcnt(0) lgkmcnt(0)
	s_waitcnt_vscnt null, 0x0
	flat_store_dword v[24:25], v84
.LBB2_490:                              ;   in Loop: Header=BB2_420 Depth=3
	s_or_b32 exec_lo, exec_lo, s16
	v_and_b32_e32 v3, 48, v71
	s_mov_b32 s16, exec_lo
	v_cmpx_ne_u32_e32 0, v3
	s_cbranch_execz .LBB2_419
; %bb.491:                              ;   in Loop: Header=BB2_420 Depth=3
	v_add_co_u32 v38, vcc_lo, v38, 2
	v_add_co_ci_u32_e64 v39, null, 0, v39, vcc_lo
	s_waitcnt vmcnt(0) lgkmcnt(0)
	s_waitcnt_vscnt null, 0x0
	flat_store_dwordx2 v[20:21], v[38:39]
	s_branch .LBB2_419
.LBB2_492:                              ;   in Loop: Header=BB2_47 Depth=1
	v_mul_lo_u32 v3, v37, s25
	v_mul_lo_u32 v10, v36, s28
	v_mad_u64_u32 v[8:9], null, v36, s25, 0
	v_mov_b32_e32 v55, 0
	v_add3_u32 v9, v9, v10, v3
	v_sub_co_u32 v10, vcc_lo, v48, v8
	v_sub_co_ci_u32_e64 v11, null, v49, v9, vcc_lo
	v_cmp_lt_i64_e32 vcc_lo, v[36:37], v[10:11]
	v_cndmask_b32_e32 v11, v10, v36, vcc_lo
	v_max_i32_e32 v3, 0, v11
	v_cmp_lt_i32_e32 vcc_lo, 0, v11
	v_add_nc_u32_e32 v10, 31, v3
	s_and_b32 s16, s57, vcc_lo
	v_lshrrev_b32_e32 v10, 1, v10
	v_and_b32_e32 v50, 0x3ffffff0, v10
	v_mov_b32_e32 v10, 0
	v_max_i32_e32 v50, s45, v50
	s_and_saveexec_b32 s21, s16
	s_cbranch_execz .LBB2_675
; %bb.493:                              ;   in Loop: Header=BB2_47 Depth=1
	v_add_co_u32 v41, vcc_lo, v8, v119
	v_add_co_ci_u32_e64 v42, null, v9, v40, vcc_lo
	v_mov_b32_e32 v55, 0
	s_mov_b32 s63, 1
	s_mov_b32 s62, -1
	s_mov_b32 s61, 0
	s_branch .LBB2_495
.LBB2_494:                              ;   in Loop: Header=BB2_495 Depth=2
	s_or_b32 exec_lo, exec_lo, s16
	v_add_nc_u32_e32 v55, v50, v55
	s_xor_b32 s16, s62, -1
	v_mov_b32_e32 v10, s63
	s_mov_b32 s62, 0
	s_mov_b32 s63, 2
	v_cmp_ge_i32_e32 vcc_lo, v55, v3
	s_or_b32 s16, s16, vcc_lo
	s_and_b32 s16, exec_lo, s16
	s_or_b32 s61, s16, s61
	s_andn2_b32 exec_lo, exec_lo, s61
	s_cbranch_execz .LBB2_674
.LBB2_495:                              ;   Parent Loop BB2_47 Depth=1
                                        ; =>  This Loop Header: Depth=2
                                        ;       Child Loop BB2_503 Depth 3
                                        ;       Child Loop BB2_531 Depth 3
	;; [unrolled: 1-line block ×4, first 2 shown]
                                        ;         Child Loop BB2_574 Depth 4
                                        ;       Child Loop BB2_580 Depth 3
                                        ;         Child Loop BB2_581 Depth 4
                                        ;       Child Loop BB2_590 Depth 3
                                        ;       Child Loop BB2_595 Depth 3
                                        ;         Child Loop BB2_596 Depth 4
                                        ;       Child Loop BB2_608 Depth 3
                                        ;       Child Loop BB2_613 Depth 3
	;; [unrolled: 1-line block ×6, first 2 shown]
	s_and_saveexec_b32 s17, s4
	s_cbranch_execz .LBB2_497
; %bb.496:                              ;   in Loop: Header=BB2_495 Depth=2
	s_trap 2
	ds_read2_b64 v[8:11], v0 offset1:1
	ds_read_b64 v[51:52], v0
	v_ashrrev_i32_e32 v53, 31, v55
	s_waitcnt lgkmcnt(1)
	v_add_co_u32 v8, vcc_lo, v8, v41
	v_add_co_ci_u32_e64 v9, null, v9, v42, vcc_lo
	v_add_co_u32 v10, vcc_lo, v10, v41
	v_add_co_ci_u32_e64 v11, null, v11, v42, vcc_lo
	s_waitcnt lgkmcnt(0)
	v_add_co_u32 v54, vcc_lo, v51, v41
	v_add_co_ci_u32_e64 v64, null, v52, v42, vcc_lo
	v_add_co_u32 v8, vcc_lo, v8, v55
	v_add_co_ci_u32_e64 v9, null, v9, v53, vcc_lo
	;; [unrolled: 2-line block ×3, first 2 shown]
	v_cmp_ne_u64_e32 vcc_lo, 0, v[51:52]
	v_add_co_u32 v10, s16, v10, v55
	v_add_co_ci_u32_e64 v11, null, v11, v53, s16
	v_cndmask_b32_e32 v52, 0, v64, vcc_lo
	v_cndmask_b32_e32 v51, 0, v54, vcc_lo
	ds_write_b64 v0, v[8:9]
	ds_write_b64 v0, v[10:11]
	;; [unrolled: 1-line block ×3, first 2 shown]
.LBB2_497:                              ;   in Loop: Header=BB2_495 Depth=2
	s_or_b32 exec_lo, exec_lo, s17
	v_sub_nc_u32_e32 v8, v3, v55
	v_and_b32_e32 v9, 12, v71
	s_mov_b32 s17, exec_lo
	v_min_i32_e32 v50, v50, v8
	v_cmpx_ne_u32_e32 0, v9
	s_cbranch_execz .LBB2_523
; %bb.498:                              ;   in Loop: Header=BB2_495 Depth=2
	v_and_b32_e32 v53, 8, v71
	s_mov_b32 s18, exec_lo
	s_waitcnt vmcnt(0) lgkmcnt(1)
	v_add_co_u32 v10, vcc_lo, v26, v53
	v_add_co_ci_u32_e64 v11, null, 0, v27, vcc_lo
	v_add_co_u32 v8, vcc_lo, v38, 2
	v_add_co_ci_u32_e64 v9, null, 0, v39, vcc_lo
	v_cmpx_lt_u64_e64 v[10:11], v[8:9]
	s_cbranch_execz .LBB2_510
; %bb.499:                              ;   in Loop: Header=BB2_495 Depth=2
	v_and_b32_e32 v10, 64, v71
	s_mov_b32 s19, 0
	s_mov_b32 s73, 0
                                        ; implicit-def: $sgpr22
                                        ; implicit-def: $sgpr23
                                        ; implicit-def: $sgpr72
	v_cmp_eq_u32_e32 vcc_lo, 0, v10
	s_branch .LBB2_503
.LBB2_500:                              ;   in Loop: Header=BB2_503 Depth=3
	s_waitcnt vmcnt(0) lgkmcnt(0)
	v_add_co_u32 v51, s16, v26, v53
	v_add_co_ci_u32_e64 v52, null, 0, v27, s16
	s_or_b32 s76, s76, exec_lo
	v_cmp_ge_u64_e64 s16, v[51:52], v[8:9]
	s_orn2_b32 s75, s16, exec_lo
.LBB2_501:                              ;   in Loop: Header=BB2_503 Depth=3
	s_or_b32 exec_lo, exec_lo, s78
	s_andn2_b32 s16, s72, exec_lo
	s_and_b32 s72, s76, exec_lo
	s_andn2_b32 s23, s23, exec_lo
	s_and_b32 s75, s75, exec_lo
	s_or_b32 s72, s16, s72
	s_or_b32 s23, s23, s75
.LBB2_502:                              ;   in Loop: Header=BB2_503 Depth=3
	s_or_b32 exec_lo, exec_lo, s74
	s_and_b32 s16, exec_lo, s23
	s_or_b32 s19, s16, s19
	s_andn2_b32 s16, s22, exec_lo
	s_and_b32 s22, s72, exec_lo
	s_or_b32 s22, s16, s22
	s_andn2_b32 exec_lo, exec_lo, s19
	s_cbranch_execz .LBB2_507
.LBB2_503:                              ;   Parent Loop BB2_47 Depth=1
                                        ;     Parent Loop BB2_495 Depth=2
                                        ; =>    This Inner Loop Header: Depth=3
	s_sleep 1
	s_waitcnt vmcnt(0) lgkmcnt(0)
	flat_load_dwordx2 v[26:27], v[20:21] glc dlc
	s_or_b32 s72, s72, exec_lo
	s_or_b32 s23, s23, exec_lo
                                        ; implicit-def: $vgpr10
	s_and_saveexec_b32 s74, vcc_lo
	s_cbranch_execz .LBB2_502
; %bb.504:                              ;   in Loop: Header=BB2_503 Depth=3
	s_cmpk_lt_i32 s73, 0x270f
	s_mov_b32 s75, -1
	s_cselect_b32 s77, -1, 0
	s_cmpk_gt_i32 s73, 0x270e
	s_cbranch_scc0 .LBB2_506
; %bb.505:                              ;   in Loop: Header=BB2_503 Depth=3
	s_trap 2
	ds_read_b64 v[10:11], v0
	s_andn2_b32 s73, s77, exec_lo
	s_mov_b32 s76, 0
	s_waitcnt vmcnt(0) lgkmcnt(0)
	s_waitcnt_vscnt null, 0x0
	flat_load_dword v10, v[10:11] glc dlc
	s_waitcnt vmcnt(0) lgkmcnt(0)
	buffer_gl1_inv
	buffer_gl0_inv
	v_cmp_eq_u32_e64 s16, 0, v10
	s_and_b32 s16, s16, exec_lo
	s_or_b32 s77, s73, s16
	s_mov_b32 s73, 0
	s_and_saveexec_b32 s78, s77
	s_cbranch_execz .LBB2_501
	s_branch .LBB2_500
.LBB2_506:                              ;   in Loop: Header=BB2_503 Depth=3
	s_add_i32 s73, s73, 1
	s_mov_b32 s76, -1
                                        ; implicit-def: $vgpr10
	s_and_saveexec_b32 s78, s77
	s_cbranch_execz .LBB2_501
	s_branch .LBB2_500
.LBB2_507:                              ;   in Loop: Header=BB2_495 Depth=2
	s_or_b32 exec_lo, exec_lo, s19
	s_xor_b32 s16, s22, -1
	s_and_saveexec_b32 s19, s16
	s_xor_b32 s16, exec_lo, s19
	s_cbranch_execz .LBB2_509
; %bb.508:                              ;   in Loop: Header=BB2_495 Depth=2
	v_or_b32_e32 v71, 64, v71
	s_waitcnt vmcnt(0) lgkmcnt(0)
	s_waitcnt_vscnt null, 0x0
	ds_write_b32 v0, v10
	s_trap 2
.LBB2_509:                              ;   in Loop: Header=BB2_495 Depth=2
	s_or_b32 exec_lo, exec_lo, s16
.LBB2_510:                              ;   in Loop: Header=BB2_495 Depth=2
	s_or_b32 exec_lo, exec_lo, s18
	v_and_b32_e32 v10, 0x108, v71
	;;#ASMSTART
	s_wakeup
	;;#ASMEND
	v_cmp_ne_u32_e32 vcc_lo, 0x108, v10
                                        ; implicit-def: $vgpr10_vgpr11
	s_and_saveexec_b32 s16, vcc_lo
	s_xor_b32 s16, exec_lo, s16
; %bb.511:                              ;   in Loop: Header=BB2_495 Depth=2
	v_and_b32_e32 v10, 7, v38
	v_mov_b32_e32 v11, v2
                                        ; implicit-def: $vgpr38_vgpr39
; %bb.512:                              ;   in Loop: Header=BB2_495 Depth=2
	s_andn2_saveexec_b32 s16, s16
	s_cbranch_execz .LBB2_514
; %bb.513:                              ;   in Loop: Header=BB2_495 Depth=2
	v_and_b32_e32 v10, 7, v38
	v_ashrrev_i32_e32 v51, 31, v50
	v_mov_b32_e32 v11, v2
	v_mad_u64_u32 v[38:39], null, v10, 24, v[6:7]
	flat_store_dwordx2 v[38:39], v[50:51] offset:8
.LBB2_514:                              ;   in Loop: Header=BB2_495 Depth=2
	s_or_b32 exec_lo, exec_lo, s16
	v_and_b32_e32 v38, 0x100, v71
	s_mov_b32 s16, -1
	v_cmp_ne_u32_e32 vcc_lo, 0, v38
                                        ; implicit-def: $vgpr38_vgpr39
	s_and_saveexec_b32 s18, vcc_lo
	s_cbranch_execz .LBB2_518
; %bb.515:                              ;   in Loop: Header=BB2_495 Depth=2
	v_mad_u64_u32 v[51:52], null, v10, 24, v[6:7]
	v_mov_b32_e32 v38, v52
	v_mad_u64_u32 v[38:39], null, v11, 24, v[38:39]
	v_mov_b32_e32 v52, v38
	flat_load_dword v38, v[51:52]
	s_waitcnt vmcnt(0) lgkmcnt(0)
	v_cmp_eq_u32_e64 s16, 1, v38
	v_cmp_ne_u32_e32 vcc_lo, 1, v38
                                        ; implicit-def: $vgpr38_vgpr39
	s_and_saveexec_b32 s19, s16
	s_cbranch_execz .LBB2_517
; %bb.516:                              ;   in Loop: Header=BB2_495 Depth=2
	flat_load_dword v38, v[51:52] offset:4 glc dlc
	s_waitcnt vmcnt(0) lgkmcnt(0)
	v_ashrrev_i32_e32 v39, 31, v38
.LBB2_517:                              ;   in Loop: Header=BB2_495 Depth=2
	s_or_b32 exec_lo, exec_lo, s19
	s_orn2_b32 s16, vcc_lo, exec_lo
.LBB2_518:                              ;   in Loop: Header=BB2_495 Depth=2
	s_or_b32 exec_lo, exec_lo, s18
	s_and_saveexec_b32 s18, s16
; %bb.519:                              ;   in Loop: Header=BB2_495 Depth=2
	v_mul_lo_u32 v11, v11, v80
	v_mul_lo_u32 v51, v10, v30
	v_mad_u64_u32 v[38:39], null, v10, v80, 0
	v_add3_u32 v39, v39, v51, v11
; %bb.520:                              ;   in Loop: Header=BB2_495 Depth=2
	s_or_b32 exec_lo, exec_lo, s18
	v_cmp_eq_u32_e32 vcc_lo, 0, v53
	v_and_b32_e32 v52, 0x2000, v71
	s_mov_b32 s16, exec_lo
	v_cndmask_b32_e32 v51, 0xd0, v85, vcc_lo
	v_add_co_u32 v10, vcc_lo, v22, v38
	v_add_co_ci_u32_e64 v11, null, v23, v39, vcc_lo
	v_add_nc_u32_e32 v38, v0, v51
	ds_write_b64 v38, v[10:11] offset:584
	v_cmpx_ne_u32_e32 0, v52
	s_cbranch_execz .LBB2_522
; %bb.521:                              ;   in Loop: Header=BB2_495 Depth=2
	ds_read_b64 v[10:11], v0 offset:872
	s_waitcnt lgkmcnt(0)
	v_add_co_u32 v10, vcc_lo, v10, 1
	v_add_co_ci_u32_e64 v11, null, 0, v11, vcc_lo
	ds_write_b64 v0, v[10:11] offset:872
.LBB2_522:                              ;   in Loop: Header=BB2_495 Depth=2
	s_or_b32 exec_lo, exec_lo, s16
	v_mov_b32_e32 v39, v9
	v_mov_b32_e32 v38, v8
.LBB2_523:                              ;   in Loop: Header=BB2_495 Depth=2
	s_or_b32 exec_lo, exec_lo, s17
	s_and_saveexec_b32 s16, s6
	s_cbranch_execz .LBB2_542
; %bb.524:                              ;   in Loop: Header=BB2_495 Depth=2
	s_and_saveexec_b32 s17, s29
	s_xor_b32 s17, exec_lo, s17
	s_cbranch_execz .LBB2_539
; %bb.525:                              ;   in Loop: Header=BB2_495 Depth=2
	s_and_saveexec_b32 s18, s11
	s_cbranch_execz .LBB2_538
; %bb.526:                              ;   in Loop: Header=BB2_495 Depth=2
	s_mov_b32 s22, exec_lo
	s_mov_b32 s19, exec_lo
	v_mbcnt_lo_u32_b32 v8, s22, 0
	s_waitcnt vmcnt(0) lgkmcnt(0)
	s_waitcnt_vscnt null, 0x0
	buffer_gl1_inv
	buffer_gl0_inv
	v_cmpx_eq_u32_e32 0, v8
	s_cbranch_execz .LBB2_528
; %bb.527:                              ;   in Loop: Header=BB2_495 Depth=2
	s_bcnt1_i32_b32 s22, s22
	v_mov_b32_e32 v9, v2
	v_mov_b32_e32 v8, s22
	ds_add_u64 v0, v[8:9]
	s_trap 2
.LBB2_528:                              ;   in Loop: Header=BB2_495 Depth=2
	s_or_b32 exec_lo, exec_lo, s19
	s_trap 2
	ds_read_b64 v[8:9], v0
	s_waitcnt lgkmcnt(0)
	buffer_gl0_inv
	v_add_co_u32 v12, vcc_lo, v12, v81
	v_add_co_ci_u32_e64 v13, null, 0, v13, vcc_lo
	s_mov_b32 s19, exec_lo
	v_cmpx_lt_u64_e64 v[8:9], v[12:13]
	s_cbranch_execz .LBB2_537
; %bb.529:                              ;   in Loop: Header=BB2_495 Depth=2
	s_mov_b32 s22, 0
	s_mov_b32 s73, 0
                                        ; implicit-def: $sgpr23
                                        ; implicit-def: $sgpr72
	s_inst_prefetch 0x1
	s_branch .LBB2_531
	.p2align	6
.LBB2_530:                              ;   in Loop: Header=BB2_531 Depth=3
	s_or_b32 exec_lo, exec_lo, s75
	s_and_b32 s74, exec_lo, s76
	s_or_b32 s22, s74, s22
	s_andn2_b32 s23, s23, exec_lo
	s_and_b32 s74, s72, exec_lo
	s_or_b32 s23, s23, s74
	s_andn2_b32 exec_lo, exec_lo, s22
	s_cbranch_execz .LBB2_535
.LBB2_531:                              ;   Parent Loop BB2_47 Depth=1
                                        ;     Parent Loop BB2_495 Depth=2
                                        ; =>    This Inner Loop Header: Depth=3
	s_add_i32 s73, s73, 1
	s_cmpk_lg_i32 s73, 0x2710
	s_cselect_b32 s74, -1, 0
	s_and_b32 vcc_lo, exec_lo, s74
	s_cbranch_vccz .LBB2_533
; %bb.532:                              ;   in Loop: Header=BB2_531 Depth=3
	s_mov_b32 s76, -1
	s_or_b32 s72, s72, exec_lo
	s_and_saveexec_b32 s75, s74
	s_cbranch_execz .LBB2_530
	s_branch .LBB2_534
	.p2align	6
.LBB2_533:                              ;   in Loop: Header=BB2_531 Depth=3
	s_trap 2
	ds_read_b64 v[8:9], v0
	s_andn2_b32 s74, s74, exec_lo
	s_mov_b32 s73, 0
	s_waitcnt lgkmcnt(0)
	flat_load_dword v8, v[8:9] glc dlc
	s_waitcnt vmcnt(0) lgkmcnt(0)
	buffer_gl1_inv
	buffer_gl0_inv
	v_cmp_eq_u32_e32 vcc_lo, 0, v8
	s_and_b32 s75, vcc_lo, exec_lo
	s_or_b32 s74, s74, s75
	s_mov_b32 s76, -1
	s_or_b32 s72, s72, exec_lo
	s_and_saveexec_b32 s75, s74
	s_cbranch_execz .LBB2_530
.LBB2_534:                              ;   in Loop: Header=BB2_531 Depth=3
	s_sleep 1
	s_trap 2
	ds_read_b64 v[8:9], v0
	s_waitcnt lgkmcnt(0)
	buffer_gl0_inv
	s_andn2_b32 s72, s72, exec_lo
	v_cmp_ge_u64_e32 vcc_lo, v[8:9], v[12:13]
	s_orn2_b32 s76, vcc_lo, exec_lo
	s_branch .LBB2_530
.LBB2_535:                              ;   in Loop: Header=BB2_495 Depth=2
	s_inst_prefetch 0x2
	s_or_b32 exec_lo, exec_lo, s22
	s_and_saveexec_b32 s22, s23
	s_xor_b32 s22, exec_lo, s22
	s_cbranch_execz .LBB2_537
; %bb.536:                              ;   in Loop: Header=BB2_495 Depth=2
	ds_write_b32 v0, v84
	s_trap 2
.LBB2_537:                              ;   in Loop: Header=BB2_495 Depth=2
	s_or_b32 exec_lo, exec_lo, s19
	;;#ASMSTART
	s_wakeup
	;;#ASMEND
.LBB2_538:                              ;   in Loop: Header=BB2_495 Depth=2
	s_or_b32 exec_lo, exec_lo, s18
.LBB2_539:                              ;   in Loop: Header=BB2_495 Depth=2
	s_andn2_saveexec_b32 s17, s17
	s_cbranch_execz .LBB2_541
; %bb.540:                              ;   in Loop: Header=BB2_495 Depth=2
	s_waitcnt vmcnt(0) lgkmcnt(0)
	s_waitcnt_vscnt null, 0x0
	buffer_gl1_inv
	buffer_gl0_inv
	s_barrier
.LBB2_541:                              ;   in Loop: Header=BB2_495 Depth=2
	s_or_b32 exec_lo, exec_lo, s17
.LBB2_542:                              ;   in Loop: Header=BB2_495 Depth=2
	s_or_b32 exec_lo, exec_lo, s16
	s_trap 2
	ds_read_b32 v8, v0
	v_and_b32_e32 v9, 0x4000, v71
	s_xor_b32 s16, s5, -1
	v_cmp_ne_u32_e32 vcc_lo, 0, v9
	s_and_b32 s17, s16, vcc_lo
	s_and_saveexec_b32 s16, s17
	s_cbranch_execz .LBB2_561
; %bb.543:                              ;   in Loop: Header=BB2_495 Depth=2
	s_and_saveexec_b32 s17, s29
	s_xor_b32 s17, exec_lo, s17
	s_cbranch_execz .LBB2_558
; %bb.544:                              ;   in Loop: Header=BB2_495 Depth=2
	s_and_saveexec_b32 s18, s11
	s_cbranch_execz .LBB2_557
; %bb.545:                              ;   in Loop: Header=BB2_495 Depth=2
	s_mov_b32 s22, exec_lo
	s_mov_b32 s19, exec_lo
	v_mbcnt_lo_u32_b32 v9, s22, 0
	s_waitcnt vmcnt(0) lgkmcnt(0)
	s_waitcnt_vscnt null, 0x0
	buffer_gl1_inv
	buffer_gl0_inv
	v_cmpx_eq_u32_e32 0, v9
	s_cbranch_execz .LBB2_547
; %bb.546:                              ;   in Loop: Header=BB2_495 Depth=2
	s_bcnt1_i32_b32 s22, s22
	v_mov_b32_e32 v10, v2
	v_mov_b32_e32 v9, s22
	ds_add_u64 v0, v[9:10]
	s_trap 2
.LBB2_547:                              ;   in Loop: Header=BB2_495 Depth=2
	s_or_b32 exec_lo, exec_lo, s19
	s_trap 2
	ds_read_b64 v[9:10], v0
	s_waitcnt lgkmcnt(0)
	buffer_gl0_inv
	v_add_co_u32 v12, vcc_lo, v12, v81
	v_add_co_ci_u32_e64 v13, null, 0, v13, vcc_lo
	s_mov_b32 s19, exec_lo
	v_cmpx_lt_u64_e64 v[9:10], v[12:13]
	s_cbranch_execz .LBB2_556
; %bb.548:                              ;   in Loop: Header=BB2_495 Depth=2
	s_mov_b32 s22, 0
	s_mov_b32 s73, 0
                                        ; implicit-def: $sgpr23
                                        ; implicit-def: $sgpr72
	s_inst_prefetch 0x1
	s_branch .LBB2_550
	.p2align	6
.LBB2_549:                              ;   in Loop: Header=BB2_550 Depth=3
	s_or_b32 exec_lo, exec_lo, s75
	s_and_b32 s74, exec_lo, s76
	s_or_b32 s22, s74, s22
	s_andn2_b32 s23, s23, exec_lo
	s_and_b32 s74, s72, exec_lo
	s_or_b32 s23, s23, s74
	s_andn2_b32 exec_lo, exec_lo, s22
	s_cbranch_execz .LBB2_554
.LBB2_550:                              ;   Parent Loop BB2_47 Depth=1
                                        ;     Parent Loop BB2_495 Depth=2
                                        ; =>    This Inner Loop Header: Depth=3
	s_add_i32 s73, s73, 1
	s_cmpk_lg_i32 s73, 0x2710
	s_cselect_b32 s74, -1, 0
	s_and_b32 vcc_lo, exec_lo, s74
	s_cbranch_vccz .LBB2_552
; %bb.551:                              ;   in Loop: Header=BB2_550 Depth=3
	s_mov_b32 s76, -1
	s_or_b32 s72, s72, exec_lo
	s_and_saveexec_b32 s75, s74
	s_cbranch_execz .LBB2_549
	s_branch .LBB2_553
	.p2align	6
.LBB2_552:                              ;   in Loop: Header=BB2_550 Depth=3
	s_trap 2
	ds_read_b64 v[9:10], v0
	s_andn2_b32 s74, s74, exec_lo
	s_mov_b32 s73, 0
	s_waitcnt lgkmcnt(0)
	flat_load_dword v9, v[9:10] glc dlc
	s_waitcnt vmcnt(0) lgkmcnt(0)
	buffer_gl1_inv
	buffer_gl0_inv
	v_cmp_eq_u32_e32 vcc_lo, 0, v9
	s_and_b32 s75, vcc_lo, exec_lo
	s_or_b32 s74, s74, s75
	s_mov_b32 s76, -1
	s_or_b32 s72, s72, exec_lo
	s_and_saveexec_b32 s75, s74
	s_cbranch_execz .LBB2_549
.LBB2_553:                              ;   in Loop: Header=BB2_550 Depth=3
	s_sleep 1
	s_trap 2
	ds_read_b64 v[9:10], v0
	s_waitcnt lgkmcnt(0)
	buffer_gl0_inv
	s_andn2_b32 s72, s72, exec_lo
	v_cmp_ge_u64_e32 vcc_lo, v[9:10], v[12:13]
	s_orn2_b32 s76, vcc_lo, exec_lo
	s_branch .LBB2_549
.LBB2_554:                              ;   in Loop: Header=BB2_495 Depth=2
	s_inst_prefetch 0x2
	s_or_b32 exec_lo, exec_lo, s22
	s_and_saveexec_b32 s22, s23
	s_xor_b32 s22, exec_lo, s22
	s_cbranch_execz .LBB2_556
; %bb.555:                              ;   in Loop: Header=BB2_495 Depth=2
	ds_write_b32 v0, v84
	s_trap 2
.LBB2_556:                              ;   in Loop: Header=BB2_495 Depth=2
	s_or_b32 exec_lo, exec_lo, s19
	;;#ASMSTART
	s_wakeup
	;;#ASMEND
.LBB2_557:                              ;   in Loop: Header=BB2_495 Depth=2
	s_or_b32 exec_lo, exec_lo, s18
.LBB2_558:                              ;   in Loop: Header=BB2_495 Depth=2
	s_andn2_saveexec_b32 s17, s17
	s_cbranch_execz .LBB2_560
; %bb.559:                              ;   in Loop: Header=BB2_495 Depth=2
	s_waitcnt vmcnt(0) lgkmcnt(0)
	s_waitcnt_vscnt null, 0x0
	buffer_gl1_inv
	buffer_gl0_inv
	s_barrier
.LBB2_560:                              ;   in Loop: Header=BB2_495 Depth=2
	s_or_b32 exec_lo, exec_lo, s17
.LBB2_561:                              ;   in Loop: Header=BB2_495 Depth=2
	s_or_b32 exec_lo, exec_lo, s16
	s_trap 2
	ds_read_b64 v[51:52], v0
	s_waitcnt lgkmcnt(0)
	v_cmp_eq_u64_e32 vcc_lo, 0, v[51:52]
	s_cbranch_vccnz .LBB2_570
; %bb.562:                              ;   in Loop: Header=BB2_495 Depth=2
	s_trap 2
	ds_read_b64 v[53:54], v0
	s_waitcnt lgkmcnt(0)
	v_cmp_eq_u64_e32 vcc_lo, 0, v[53:54]
	s_cbranch_vccnz .LBB2_570
; %bb.563:                              ;   in Loop: Header=BB2_495 Depth=2
	s_trap 2
	ds_read_b64 v[64:65], v0
	v_cmp_eq_u32_e64 s16, 0, v8
	v_cndmask_b32_e64 v43, 0, v50, s16
	s_mov_b32 s16, -1
	s_waitcnt lgkmcnt(0)
	v_cmp_ne_u64_e32 vcc_lo, 0, v[64:65]
	s_cbranch_vccz .LBB2_599
; %bb.564:                              ;   in Loop: Header=BB2_495 Depth=2
	s_and_saveexec_b32 s17, s15
	s_cbranch_execz .LBB2_566
; %bb.565:                              ;   in Loop: Header=BB2_495 Depth=2
	ds_read_b32 v8, v0 offset:720
	s_waitcnt lgkmcnt(0)
	v_and_b32_e32 v8, 15, v8
	v_cmp_eq_u32_e32 vcc_lo, 0, v8
	s_orn2_b32 s16, vcc_lo, exec_lo
.LBB2_566:                              ;   in Loop: Header=BB2_495 Depth=2
	s_or_b32 exec_lo, exec_lo, s17
	s_and_saveexec_b32 s17, s15
	s_cbranch_execz .LBB2_568
; %bb.567:                              ;   in Loop: Header=BB2_495 Depth=2
	ds_read_b32 v8, v0 offset:784
	s_waitcnt lgkmcnt(0)
	v_and_b32_e32 v8, 15, v8
	v_cmp_eq_u32_e32 vcc_lo, 0, v8
	s_and_b32 s18, s16, vcc_lo
	s_andn2_b32 s16, s16, exec_lo
	s_and_b32 s18, s18, exec_lo
	s_or_b32 s16, s16, s18
.LBB2_568:                              ;   in Loop: Header=BB2_495 Depth=2
	s_or_b32 exec_lo, exec_lo, s17
	s_xor_b32 s16, s16, -1
	v_mov_b32_e32 v68, 0
	v_cndmask_b32_e64 v8, 0, 1, s16
	v_mov_b32_e32 v69, v43
	v_mov_b32_e32 v56, v0
	s_mov_b32 s17, -1
	v_cmp_ne_u32_e32 vcc_lo, 0, v8
	v_mov_b32_e32 v8, v103
	s_cbranch_vccz .LBB2_571
; %bb.569:                              ;   in Loop: Header=BB2_495 Depth=2
	s_and_saveexec_b32 s22, s17
	s_cbranch_execnz .LBB2_588
	s_branch .LBB2_598
.LBB2_570:                              ;   in Loop: Header=BB2_495 Depth=2
	s_mov_b32 s16, 0
	s_and_saveexec_b32 s17, s6
	s_cbranch_execnz .LBB2_629
	s_branch .LBB2_647
.LBB2_571:                              ;   in Loop: Header=BB2_495 Depth=2
	v_ashrrev_i32_e32 v8, 31, v43
	v_sub_nc_u32_e32 v45, v43, v83
	s_mov_b32 s19, exec_lo
	v_lshrrev_b32_e32 v8, 23, v8
	v_add_nc_u32_e32 v8, v43, v8
	v_and_b32_e32 v44, 0xfffffe00, v8
	v_ashrrev_i32_e32 v8, 9, v8
	v_sub_nc_u32_e32 v46, v43, v44
	v_cmp_lt_i32_e64 s16, 15, v46
	v_add_co_ci_u32_e64 v47, null, v8, v116, s16
	v_cmpx_lt_i32_e32 15, v45
	s_cbranch_execz .LBB2_577
; %bb.572:                              ;   in Loop: Header=BB2_495 Depth=2
	s_trap 2
	ds_read_b64 v[8:9], v0
	v_add_co_u32 v56, vcc_lo, v53, v83
	v_add_co_ci_u32_e64 v57, null, v54, v99, vcc_lo
	v_add_co_u32 v58, vcc_lo, v64, v83
	v_add_co_ci_u32_e64 v59, null, v65, v99, vcc_lo
	;; [unrolled: 2-line block ×3, first 2 shown]
	s_mov_b32 s72, 0
	s_waitcnt lgkmcnt(0)
	v_add_co_u32 v68, vcc_lo, v8, v83
	v_add_co_ci_u32_e64 v69, null, v9, v99, vcc_lo
.LBB2_573:                              ;   Parent Loop BB2_47 Depth=1
                                        ;     Parent Loop BB2_495 Depth=2
                                        ; =>    This Loop Header: Depth=3
                                        ;         Child Loop BB2_574 Depth 4
	global_load_dwordx4 v[8:11], v[68:69], off slc
	global_load_dwordx4 v[60:63], v[66:67], off slc
	s_mov_b64 s[22:23], 0
	s_mov_b32 s73, -1
	s_waitcnt vmcnt(1)
	v_lshrrev_b32_e32 v72, 8, v8
	v_lshrrev_b32_e32 v73, 8, v9
	;; [unrolled: 1-line block ×4, first 2 shown]
	s_waitcnt vmcnt(0)
	v_lshlrev_b32_sdwa v76, v86, v60 dst_sel:DWORD dst_unused:UNUSED_PAD src0_sel:DWORD src1_sel:BYTE_3
	v_and_b32_e32 v78, 0xff00, v60
	v_lshlrev_b32_sdwa v79, v86, v61 dst_sel:DWORD dst_unused:UNUSED_PAD src0_sel:DWORD src1_sel:BYTE_3
	v_and_b32_e32 v89, 0xff00, v61
	;; [unrolled: 2-line block ×4, first 2 shown]
	v_mul_lo_u32 v77, v8, v60
	v_mul_lo_u32 v88, v9, v61
	;; [unrolled: 1-line block ×4, first 2 shown]
	v_mul_u32_u24_sdwa v60, v8, v60 dst_sel:DWORD dst_unused:UNUSED_PAD src0_sel:WORD_1 src1_sel:WORD_1
	v_mul_u32_u24_sdwa v61, v9, v61 dst_sel:DWORD dst_unused:UNUSED_PAD src0_sel:WORD_1 src1_sel:WORD_1
	;; [unrolled: 1-line block ×4, first 2 shown]
	v_mul_u32_u24_e32 v72, v72, v78
	v_mul_u32_u24_sdwa v8, v8, v76 dst_sel:DWORD dst_unused:UNUSED_PAD src0_sel:BYTE_3 src1_sel:DWORD
	v_mul_u32_u24_e32 v73, v73, v89
	v_mul_u32_u24_sdwa v9, v9, v79 dst_sel:DWORD dst_unused:UNUSED_PAD src0_sel:BYTE_3 src1_sel:DWORD
	;; [unrolled: 2-line block ×4, first 2 shown]
	v_perm_b32 v72, v72, v77, 0xc0c0500
	v_perm_b32 v8, v8, v60, 0xc0c0500
	;; [unrolled: 1-line block ×8, first 2 shown]
	v_lshl_or_b32 v8, v8, 16, v72
	v_lshl_or_b32 v9, v9, 16, v60
	;; [unrolled: 1-line block ×4, first 2 shown]
	.p2align	6
.LBB2_574:                              ;   Parent Loop BB2_47 Depth=1
                                        ;     Parent Loop BB2_495 Depth=2
                                        ;       Parent Loop BB2_573 Depth=3
                                        ; =>      This Inner Loop Header: Depth=4
	s_cmp_eq_u32 s22, 1
	s_cselect_b32 vcc_lo, -1, 0
	s_cmp_eq_u32 s22, 0
	v_cndmask_b32_e32 v60, v56, v58, vcc_lo
	v_cndmask_b32_e32 v61, v57, v59, vcc_lo
	s_mov_b64 s[22:23], 1
	v_add_co_u32 v62, s17, 0x200, v60
	v_add_co_ci_u32_e64 v63, null, 0, v61, s17
	s_cselect_b32 s17, -1, 0
	v_cndmask_b32_e32 v58, v58, v62, vcc_lo
	v_cndmask_b32_e64 v56, v56, v62, s17
	v_cndmask_b32_e32 v59, v59, v63, vcc_lo
	v_cndmask_b32_e64 v57, v57, v63, s17
	s_and_b32 s18, exec_lo, s73
	s_mov_b32 s73, 0
	s_mov_b32 vcc_lo, s18
	global_store_dwordx4 v[60:61], v[8:11], off glc slc
	s_cbranch_vccnz .LBB2_574
; %bb.575:                              ;   in Loop: Header=BB2_573 Depth=3
	v_add_co_u32 v66, vcc_lo, v66, v117
	v_sub_nc_u32_e32 v45, v45, v97
	v_add_co_ci_u32_e64 v67, null, v67, v118, vcc_lo
	v_add_co_u32 v68, vcc_lo, v68, v117
	v_add_co_ci_u32_e64 v69, null, v69, v118, vcc_lo
	v_add_co_u32 v56, vcc_lo, v56, v101
	v_add_co_ci_u32_e64 v57, null, v57, v112, vcc_lo
	v_cmp_gt_i32_e32 vcc_lo, 16, v45
	v_add_co_u32 v58, s17, v58, v101
	v_add_co_ci_u32_e64 v59, null, v59, v112, s17
	v_sub_nc_u32_e32 v47, v47, v81
	s_or_b32 s72, vcc_lo, s72
	s_andn2_b32 exec_lo, exec_lo, s72
	s_cbranch_execnz .LBB2_573
; %bb.576:                              ;   in Loop: Header=BB2_495 Depth=2
	s_or_b32 exec_lo, exec_lo, s72
.LBB2_577:                              ;   in Loop: Header=BB2_495 Depth=2
	s_or_b32 exec_lo, exec_lo, s19
	v_and_b32_e32 v9, 15, v43
	v_mov_b32_e32 v68, 0
	s_mov_b32 s17, 0
	s_mov_b32 s19, exec_lo
                                        ; implicit-def: $vgpr69
                                        ; implicit-def: $vgpr56
                                        ; implicit-def: $vgpr8
	v_cndmask_b32_e64 v45, v46, v9, s16
	v_cmpx_ne_u32_e32 0, v45
	s_cbranch_execz .LBB2_587
; %bb.578:                              ;   in Loop: Header=BB2_495 Depth=2
	v_cmp_lt_i32_e32 vcc_lo, 0, v47
	v_ashrrev_i32_e32 v11, 31, v45
	v_sub_nc_u32_e32 v9, v46, v9
	s_mov_b32 s72, exec_lo
	v_cndmask_b32_e32 v8, 0, v81, vcc_lo
	v_lshrrev_b32_e32 v11, 23, v11
	v_cndmask_b32_e64 v9, 0, v9, s16
	v_sub_nc_u32_e32 v8, v8, v47
	v_add_nc_u32_e32 v11, v45, v11
	v_add_nc_u32_e32 v44, v9, v44
	v_lshl_add_u32 v8, v8, 5, v115
	v_and_b32_e32 v47, 0xfffffe00, v11
	v_ashrrev_i32_e32 v11, 9, v11
	v_ashrrev_i32_e32 v10, 31, v8
	v_sub_nc_u32_e32 v46, v45, v47
	v_lshrrev_b32_e32 v10, 27, v10
	v_cmp_lt_i32_e64 s16, 15, v46
	v_add_nc_u32_e32 v10, v8, v10
	v_add_co_ci_u32_e64 v11, null, 0, v11, s16
	v_and_b32_e32 v66, 0xffffffe0, v10
	v_ashrrev_i32_e32 v10, 5, v10
	v_sub_nc_u32_e32 v57, v8, v66
	v_sub_nc_u32_e32 v58, v11, v10
	v_lshlrev_b32_e32 v8, 4, v57
	v_lshl_add_u32 v8, v10, 9, v8
	v_sub_nc_u32_e32 v56, v45, v8
	v_cmpx_lt_i32_e32 15, v56
	s_cbranch_execz .LBB2_584
; %bb.579:                              ;   in Loop: Header=BB2_495 Depth=2
	s_trap 2
	ds_read_b64 v[9:10], v0
	v_add_nc_u32_e32 v8, v8, v44
	s_mov_b32 s73, 0
	v_ashrrev_i32_e32 v11, 31, v8
	v_add_co_u32 v59, vcc_lo, v8, v53
	v_add_co_ci_u32_e64 v60, null, v11, v54, vcc_lo
	v_add_co_u32 v61, vcc_lo, v8, v64
	v_add_co_ci_u32_e64 v62, null, v11, v65, vcc_lo
	;; [unrolled: 2-line block ×3, first 2 shown]
	s_waitcnt lgkmcnt(0)
	v_add_co_u32 v68, vcc_lo, v9, v8
	v_add_co_ci_u32_e64 v69, null, v10, v11, vcc_lo
.LBB2_580:                              ;   Parent Loop BB2_47 Depth=1
                                        ;     Parent Loop BB2_495 Depth=2
                                        ; =>    This Loop Header: Depth=3
                                        ;         Child Loop BB2_581 Depth 4
	global_load_dwordx4 v[8:11], v[68:69], off slc
	global_load_dwordx4 v[72:75], v[66:67], off slc
	s_mov_b64 s[22:23], 0
	s_mov_b32 s74, -1
	s_waitcnt vmcnt(1)
	v_lshrrev_b32_e32 v63, 8, v8
	v_lshrrev_b32_e32 v76, 8, v9
	;; [unrolled: 1-line block ×4, first 2 shown]
	s_waitcnt vmcnt(0)
	v_lshlrev_b32_sdwa v79, v86, v72 dst_sel:DWORD dst_unused:UNUSED_PAD src0_sel:DWORD src1_sel:BYTE_3
	v_and_b32_e32 v89, 0xff00, v72
	v_lshlrev_b32_sdwa v90, v86, v73 dst_sel:DWORD dst_unused:UNUSED_PAD src0_sel:DWORD src1_sel:BYTE_3
	v_and_b32_e32 v92, 0xff00, v73
	;; [unrolled: 2-line block ×4, first 2 shown]
	v_mul_lo_u32 v88, v8, v72
	v_mul_lo_u32 v91, v9, v73
	v_mul_lo_u32 v94, v10, v74
	v_mul_lo_u32 v105, v11, v75
	v_mul_u32_u24_sdwa v72, v8, v72 dst_sel:DWORD dst_unused:UNUSED_PAD src0_sel:WORD_1 src1_sel:WORD_1
	v_mul_u32_u24_sdwa v73, v9, v73 dst_sel:DWORD dst_unused:UNUSED_PAD src0_sel:WORD_1 src1_sel:WORD_1
	;; [unrolled: 1-line block ×4, first 2 shown]
	v_mul_u32_u24_e32 v63, v63, v89
	v_mul_u32_u24_sdwa v8, v8, v79 dst_sel:DWORD dst_unused:UNUSED_PAD src0_sel:BYTE_3 src1_sel:DWORD
	v_mul_u32_u24_e32 v76, v76, v92
	v_mul_u32_u24_sdwa v9, v9, v90 dst_sel:DWORD dst_unused:UNUSED_PAD src0_sel:BYTE_3 src1_sel:DWORD
	;; [unrolled: 2-line block ×4, first 2 shown]
	v_perm_b32 v63, v63, v88, 0xc0c0500
	v_perm_b32 v8, v8, v72, 0xc0c0500
	;; [unrolled: 1-line block ×8, first 2 shown]
	v_lshl_or_b32 v8, v8, 16, v63
	v_lshl_or_b32 v9, v9, 16, v72
	;; [unrolled: 1-line block ×4, first 2 shown]
	.p2align	6
.LBB2_581:                              ;   Parent Loop BB2_47 Depth=1
                                        ;     Parent Loop BB2_495 Depth=2
                                        ;       Parent Loop BB2_580 Depth=3
                                        ; =>      This Inner Loop Header: Depth=4
	s_cmp_eq_u32 s22, 1
	s_cselect_b32 vcc_lo, -1, 0
	s_cmp_eq_u32 s22, 0
	v_cndmask_b32_e32 v72, v59, v61, vcc_lo
	v_cndmask_b32_e32 v73, v60, v62, vcc_lo
	s_mov_b64 s[22:23], 1
	v_add_co_u32 v63, s17, 0x200, v72
	v_add_co_ci_u32_e64 v74, null, 0, v73, s17
	s_cselect_b32 s17, -1, 0
	v_cndmask_b32_e32 v61, v61, v63, vcc_lo
	v_cndmask_b32_e64 v59, v59, v63, s17
	v_cndmask_b32_e32 v62, v62, v74, vcc_lo
	v_cndmask_b32_e64 v60, v60, v74, s17
	s_and_b32 s18, exec_lo, s74
	s_mov_b32 s74, 0
	s_mov_b32 vcc_lo, s18
	global_store_dwordx4 v[72:73], v[8:11], off glc slc
	s_cbranch_vccnz .LBB2_581
; %bb.582:                              ;   in Loop: Header=BB2_580 Depth=3
	v_add_co_u32 v66, vcc_lo, v66, v117
	v_sub_nc_u32_e32 v56, v56, v97
	v_add_co_ci_u32_e64 v67, null, v67, v118, vcc_lo
	v_add_co_u32 v68, vcc_lo, v68, v117
	v_add_co_ci_u32_e64 v69, null, v69, v118, vcc_lo
	v_add_co_u32 v59, vcc_lo, v59, v101
	v_add_co_ci_u32_e64 v60, null, v60, v112, vcc_lo
	v_cmp_gt_i32_e32 vcc_lo, 16, v56
	v_add_co_u32 v61, s17, v61, v101
	v_add_co_ci_u32_e64 v62, null, v62, v112, s17
	v_sub_nc_u32_e32 v58, v58, v81
	s_or_b32 s73, vcc_lo, s73
	s_andn2_b32 exec_lo, exec_lo, s73
	s_cbranch_execnz .LBB2_580
; %bb.583:                              ;   in Loop: Header=BB2_495 Depth=2
	s_or_b32 exec_lo, exec_lo, s73
.LBB2_584:                              ;   in Loop: Header=BB2_495 Depth=2
	s_or_b32 exec_lo, exec_lo, s72
	v_and_b32_e32 v9, 15, v45
	v_mov_b32_e32 v68, 0
	s_mov_b32 s17, 0
	s_mov_b32 s18, exec_lo
                                        ; implicit-def: $vgpr56
                                        ; implicit-def: $vgpr8
	v_cndmask_b32_e64 v69, v46, v9, s16
	v_cmpx_ne_u32_e32 0, v69
	s_cbranch_execz .LBB2_586
; %bb.585:                              ;   in Loop: Header=BB2_495 Depth=2
	v_cmp_lt_i32_e32 vcc_lo, 0, v58
	v_sub_nc_u32_e32 v9, v46, v9
	s_mov_b32 s17, exec_lo
	v_cndmask_b32_e32 v8, 0, v81, vcc_lo
	v_cndmask_b32_e64 v9, 0, v9, s16
	v_sub_nc_u32_e32 v8, v8, v58
	v_add3_u32 v68, v47, v44, v9
	v_lshl_add_u32 v56, v8, 5, v57
	v_ashrrev_i32_e32 v8, 31, v56
	v_lshrrev_b32_e32 v8, 27, v8
	v_add_nc_u32_e32 v8, v56, v8
	v_ashrrev_i32_e32 v8, 5, v8
.LBB2_586:                              ;   in Loop: Header=BB2_495 Depth=2
	s_or_b32 exec_lo, exec_lo, s18
	s_and_b32 s17, s17, exec_lo
.LBB2_587:                              ;   in Loop: Header=BB2_495 Depth=2
	s_or_b32 exec_lo, exec_lo, s19
	s_and_saveexec_b32 s22, s17
	s_cbranch_execz .LBB2_598
.LBB2_588:                              ;   in Loop: Header=BB2_495 Depth=2
	v_ashrrev_i32_e32 v9, 31, v69
	s_mov_b32 s17, exec_lo
	v_add_nc_u32_sdwa v9, v69, v9 dst_sel:DWORD dst_unused:UNUSED_PAD src0_sel:DWORD src1_sel:BYTE_3
	v_ashrrev_i32_e32 v46, 8, v9
	v_ashrrev_i32_e32 v9, 31, v56
	v_sub_nc_u32_e32 v44, v46, v8
	v_lshrrev_b32_e32 v45, 27, v9
	v_cmpx_lt_i32_e32 0, v44
	s_cbranch_execz .LBB2_592
; %bb.589:                              ;   in Loop: Header=BB2_495 Depth=2
	v_add_nc_u32_e32 v9, v56, v45
	s_trap 2
	ds_read_b64 v[66:67], v0
	v_lshlrev_b32_e32 v8, 8, v8
	s_mov_b32 s18, 0
	v_and_b32_e32 v9, 0xffffffe0, v9
	v_sub_nc_u32_e32 v9, v56, v9
	v_add3_u32 v47, v68, v9, v8
	v_ashrrev_i32_e32 v57, 31, v47
	v_add_co_u32 v8, vcc_lo, v47, v53
	v_add_co_ci_u32_e64 v9, null, v57, v54, vcc_lo
	v_add_co_u32 v10, vcc_lo, v47, v64
	v_add_co_ci_u32_e64 v11, null, v57, v65, vcc_lo
	;; [unrolled: 2-line block ×3, first 2 shown]
	s_waitcnt lgkmcnt(0)
	v_add_co_u32 v66, vcc_lo, v66, v47
	v_add_co_ci_u32_e64 v67, null, v67, v57, vcc_lo
.LBB2_590:                              ;   Parent Loop BB2_47 Depth=1
                                        ;     Parent Loop BB2_495 Depth=2
                                        ; =>    This Inner Loop Header: Depth=3
	s_clause 0x7
	flat_load_ubyte v47, v[64:65] slc
	flat_load_ubyte v57, v[64:65] offset:32 slc
	flat_load_ubyte v58, v[64:65] offset:64 slc
	;; [unrolled: 1-line block ×7, first 2 shown]
	s_clause 0x7
	flat_load_ubyte v72, v[66:67] slc
	flat_load_ubyte v73, v[66:67] offset:32 slc
	flat_load_ubyte v74, v[66:67] offset:64 slc
	;; [unrolled: 1-line block ×7, first 2 shown]
	v_sub_nc_u32_e32 v44, v44, v81
	v_add_co_u32 v64, vcc_lo, v64, v98
	v_add_co_ci_u32_e64 v65, null, 0, v65, vcc_lo
	v_add_co_u32 v66, vcc_lo, v66, v98
	v_add_co_ci_u32_e64 v67, null, 0, v67, vcc_lo
	v_cmp_gt_i32_e32 vcc_lo, 1, v44
	s_or_b32 s18, vcc_lo, s18
	s_waitcnt vmcnt(7) lgkmcnt(7)
	v_mul_lo_u16 v47, v72, v47
	s_waitcnt vmcnt(6) lgkmcnt(6)
	v_mul_lo_u16 v57, v73, v57
	;; [unrolled: 2-line block ×8, first 2 shown]
	flat_store_byte v[8:9], v47 glc slc
	flat_store_byte v[8:9], v57 offset:32 glc slc
	flat_store_byte v[8:9], v58 offset:64 glc slc
	;; [unrolled: 1-line block ×7, first 2 shown]
	flat_store_byte v[10:11], v47 glc slc
	flat_store_byte v[10:11], v57 offset:32 glc slc
	flat_store_byte v[10:11], v58 offset:64 glc slc
	;; [unrolled: 1-line block ×7, first 2 shown]
	v_add_co_u32 v8, s16, v8, v98
	v_add_co_ci_u32_e64 v9, null, 0, v9, s16
	v_add_co_u32 v10, s16, v10, v98
	v_add_co_ci_u32_e64 v11, null, 0, v11, s16
	s_andn2_b32 exec_lo, exec_lo, s18
	s_cbranch_execnz .LBB2_590
; %bb.591:                              ;   in Loop: Header=BB2_495 Depth=2
	s_or_b32 exec_lo, exec_lo, s18
.LBB2_592:                              ;   in Loop: Header=BB2_495 Depth=2
	s_or_b32 exec_lo, exec_lo, s17
	v_lshlrev_b32_e32 v8, 8, v46
	v_cmp_ne_u32_e32 vcc_lo, v69, v8
	s_and_b32 exec_lo, exec_lo, vcc_lo
	s_cbranch_execz .LBB2_598
; %bb.593:                              ;   in Loop: Header=BB2_495 Depth=2
	v_add_nc_u32_e32 v9, v56, v45
	v_lshlrev_b32_e32 v10, 5, v44
	v_and_b32_e32 v9, 0xffffffe0, v9
	v_sub_nc_u32_e32 v9, v56, v9
	v_sub_nc_u32_e32 v9, v9, v10
	v_add_nc_u32_e32 v8, v8, v9
	v_sub_nc_u32_e32 v69, v69, v8
	v_cmp_lt_i32_e32 vcc_lo, 0, v69
	s_and_b32 exec_lo, exec_lo, vcc_lo
	s_cbranch_execz .LBB2_598
; %bb.594:                              ;   in Loop: Header=BB2_495 Depth=2
	s_trap 2
	ds_read_b128 v[64:67], v0
	v_add_nc_u32_e32 v10, v8, v68
	s_mov_b32 s23, 0
	v_ashrrev_i32_e32 v11, 31, v10
	s_waitcnt lgkmcnt(0)
	v_add_co_u32 v8, vcc_lo, v64, v10
	v_add_co_ci_u32_e64 v9, null, v65, v11, vcc_lo
	v_add_co_u32 v10, vcc_lo, v66, v10
	v_add_co_ci_u32_e64 v11, null, v67, v11, vcc_lo
	v_mov_b32_e32 v65, v9
	v_mov_b32_e32 v64, v8
	;; [unrolled: 1-line block ×4, first 2 shown]
.LBB2_595:                              ;   Parent Loop BB2_47 Depth=1
                                        ;     Parent Loop BB2_495 Depth=2
                                        ; =>    This Loop Header: Depth=3
                                        ;         Child Loop BB2_596 Depth 4
	flat_load_ubyte v68, v[64:65] slc
	flat_load_ubyte v44, v[66:67] slc
	s_mov_b64 s[18:19], 0
	s_mov_b32 s72, -1
	s_waitcnt vmcnt(0) lgkmcnt(0)
	v_mul_lo_u16 v68, v44, v68
	.p2align	6
.LBB2_596:                              ;   Parent Loop BB2_47 Depth=1
                                        ;     Parent Loop BB2_495 Depth=2
                                        ;       Parent Loop BB2_595 Depth=3
                                        ; =>      This Inner Loop Header: Depth=4
	s_cmp_eq_u32 s18, 1
	s_cselect_b32 vcc_lo, -1, 0
	s_cmp_eq_u32 s18, 0
	v_cndmask_b32_e32 v44, v8, v10, vcc_lo
	v_cndmask_b32_e32 v45, v9, v11, vcc_lo
	s_mov_b64 s[18:19], 1
	v_add_co_u32 v46, s16, v44, 32
	v_add_co_ci_u32_e64 v47, null, 0, v45, s16
	s_cselect_b32 s16, -1, 0
	v_cndmask_b32_e32 v10, v10, v46, vcc_lo
	v_cndmask_b32_e64 v8, v8, v46, s16
	v_cndmask_b32_e32 v11, v11, v47, vcc_lo
	v_cndmask_b32_e64 v9, v9, v47, s16
	s_and_b32 s17, exec_lo, s72
	s_mov_b32 s72, 0
	s_mov_b32 vcc_lo, s17
	flat_store_byte v[44:45], v68 glc slc
	s_cbranch_vccnz .LBB2_596
; %bb.597:                              ;   in Loop: Header=BB2_595 Depth=3
	v_add_co_u32 v64, vcc_lo, v64, v113
	v_sub_nc_u32_e32 v69, v69, v82
	v_add_co_ci_u32_e64 v65, null, v65, v114, vcc_lo
	v_add_co_u32 v66, vcc_lo, v66, v113
	v_add_co_ci_u32_e64 v67, null, v67, v114, vcc_lo
	v_add_co_u32 v8, vcc_lo, v8, v100
	v_add_co_ci_u32_e64 v9, null, v9, v102, vcc_lo
	v_cmp_gt_i32_e32 vcc_lo, 1, v69
	v_add_co_u32 v10, s16, v10, v100
	v_add_co_ci_u32_e64 v11, null, v11, v102, s16
	s_or_b32 s23, vcc_lo, s23
	s_andn2_b32 exec_lo, exec_lo, s23
	s_cbranch_execnz .LBB2_595
.LBB2_598:                              ;   in Loop: Header=BB2_495 Depth=2
	s_or_b32 exec_lo, exec_lo, s22
	s_mov_b32 s16, 0
.LBB2_599:                              ;   in Loop: Header=BB2_495 Depth=2
	s_and_b32 vcc_lo, exec_lo, s16
	s_cbranch_vccz .LBB2_628
; %bb.600:                              ;   in Loop: Header=BB2_495 Depth=2
	s_mov_b32 s16, -1
	s_and_saveexec_b32 s17, s15
	s_cbranch_execz .LBB2_602
; %bb.601:                              ;   in Loop: Header=BB2_495 Depth=2
	ds_read_b32 v8, v0 offset:720
	s_waitcnt lgkmcnt(0)
	v_and_b32_e32 v8, 15, v8
	v_cmp_eq_u32_e32 vcc_lo, 0, v8
	s_orn2_b32 s16, vcc_lo, exec_lo
.LBB2_602:                              ;   in Loop: Header=BB2_495 Depth=2
	s_or_b32 exec_lo, exec_lo, s17
	s_and_saveexec_b32 s17, s13
	s_cbranch_execz .LBB2_604
; %bb.603:                              ;   in Loop: Header=BB2_495 Depth=2
	ds_read_b32 v8, v0 offset:784
	s_waitcnt lgkmcnt(0)
	v_and_b32_e32 v8, 15, v8
	v_cmp_eq_u32_e32 vcc_lo, 0, v8
	s_and_b32 s18, s16, vcc_lo
	s_andn2_b32 s16, s16, exec_lo
	s_and_b32 s18, s18, exec_lo
	s_or_b32 s16, s16, s18
.LBB2_604:                              ;   in Loop: Header=BB2_495 Depth=2
	s_or_b32 exec_lo, exec_lo, s17
	s_xor_b32 s16, s16, -1
	v_mov_b32_e32 v64, 0
	v_cndmask_b32_e64 v8, 0, 1, s16
	v_mov_b32_e32 v65, v43
	v_mov_b32_e32 v66, v0
	s_mov_b32 s19, -1
	v_cmp_ne_u32_e32 vcc_lo, 0, v8
	v_mov_b32_e32 v8, v103
	s_cbranch_vccz .LBB2_606
; %bb.605:                              ;   in Loop: Header=BB2_495 Depth=2
	s_and_saveexec_b32 s17, s19
	s_cbranch_execnz .LBB2_619
	s_branch .LBB2_627
.LBB2_606:                              ;   in Loop: Header=BB2_495 Depth=2
	v_ashrrev_i32_e32 v8, 31, v43
	v_sub_nc_u32_e32 v66, v43, v83
	s_mov_b32 s18, exec_lo
	v_lshrrev_b32_e32 v8, 23, v8
	v_add_nc_u32_e32 v8, v43, v8
	v_and_b32_e32 v67, 0xfffffe00, v8
	v_ashrrev_i32_e32 v8, 9, v8
	v_sub_nc_u32_e32 v69, v43, v67
	v_cmp_lt_i32_e32 vcc_lo, 15, v69
	v_add_co_ci_u32_e64 v44, null, v8, v116, vcc_lo
	v_cmpx_lt_i32_e32 15, v66
	s_cbranch_execz .LBB2_610
; %bb.607:                              ;   in Loop: Header=BB2_495 Depth=2
	s_trap 2
	ds_read_b64 v[10:11], v0
	v_add_co_u32 v8, s16, v51, v83
	v_add_co_ci_u32_e64 v9, null, v52, v99, s16
	s_mov_b32 s19, 0
	s_waitcnt lgkmcnt(0)
	v_add_co_u32 v10, s16, v10, v83
	v_add_co_ci_u32_e64 v11, null, v11, v99, s16
	v_add_co_u32 v64, s16, v53, v83
	v_add_co_ci_u32_e64 v65, null, v54, v99, s16
.LBB2_608:                              ;   Parent Loop BB2_47 Depth=1
                                        ;     Parent Loop BB2_495 Depth=2
                                        ; =>    This Inner Loop Header: Depth=3
	global_load_dwordx4 v[56:59], v[10:11], off slc
	global_load_dwordx4 v[60:63], v[8:9], off slc
	v_sub_nc_u32_e32 v66, v66, v97
	v_add_co_u32 v8, s16, v8, v97
	v_add_co_ci_u32_e64 v9, null, 0, v9, s16
	v_add_co_u32 v10, s16, v10, v97
	v_add_co_ci_u32_e64 v11, null, 0, v11, s16
	v_cmp_gt_i32_e64 s16, 16, v66
	v_sub_nc_u32_e32 v44, v44, v81
	s_or_b32 s19, s16, s19
	s_waitcnt vmcnt(1)
	v_lshrrev_b32_e32 v68, 8, v56
	v_lshrrev_b32_e32 v45, 8, v57
	;; [unrolled: 1-line block ×4, first 2 shown]
	s_waitcnt vmcnt(0)
	v_lshlrev_b32_sdwa v72, v86, v60 dst_sel:DWORD dst_unused:UNUSED_PAD src0_sel:DWORD src1_sel:BYTE_3
	v_and_b32_e32 v74, 0xff00, v60
	v_lshlrev_b32_sdwa v75, v86, v61 dst_sel:DWORD dst_unused:UNUSED_PAD src0_sel:DWORD src1_sel:BYTE_3
	v_and_b32_e32 v77, 0xff00, v61
	;; [unrolled: 2-line block ×4, first 2 shown]
	v_mul_lo_u32 v73, v56, v60
	v_mul_lo_u32 v76, v57, v61
	;; [unrolled: 1-line block ×4, first 2 shown]
	v_mul_u32_u24_sdwa v60, v56, v60 dst_sel:DWORD dst_unused:UNUSED_PAD src0_sel:WORD_1 src1_sel:WORD_1
	v_mul_u32_u24_sdwa v61, v57, v61 dst_sel:DWORD dst_unused:UNUSED_PAD src0_sel:WORD_1 src1_sel:WORD_1
	;; [unrolled: 1-line block ×4, first 2 shown]
	v_mul_u32_u24_e32 v68, v68, v74
	v_mul_u32_u24_sdwa v56, v56, v72 dst_sel:DWORD dst_unused:UNUSED_PAD src0_sel:BYTE_3 src1_sel:DWORD
	v_mul_u32_u24_e32 v45, v45, v77
	v_mul_u32_u24_sdwa v57, v57, v75 dst_sel:DWORD dst_unused:UNUSED_PAD src0_sel:BYTE_3 src1_sel:DWORD
	;; [unrolled: 2-line block ×4, first 2 shown]
	v_perm_b32 v68, v68, v73, 0xc0c0500
	v_perm_b32 v56, v56, v60, 0xc0c0500
	v_perm_b32 v45, v45, v76, 0xc0c0500
	v_perm_b32 v57, v57, v61, 0xc0c0500
	v_perm_b32 v46, v46, v79, 0xc0c0500
	v_perm_b32 v58, v58, v62, 0xc0c0500
	v_perm_b32 v47, v47, v90, 0xc0c0500
	v_perm_b32 v59, v59, v63, 0xc0c0500
	v_lshl_or_b32 v56, v56, 16, v68
	v_lshl_or_b32 v57, v57, 16, v45
	;; [unrolled: 1-line block ×4, first 2 shown]
	global_store_dwordx4 v[64:65], v[56:59], off glc slc
	v_add_co_u32 v64, s17, v64, v97
	v_add_co_ci_u32_e64 v65, null, 0, v65, s17
	s_andn2_b32 exec_lo, exec_lo, s19
	s_cbranch_execnz .LBB2_608
; %bb.609:                              ;   in Loop: Header=BB2_495 Depth=2
	s_or_b32 exec_lo, exec_lo, s19
.LBB2_610:                              ;   in Loop: Header=BB2_495 Depth=2
	s_or_b32 exec_lo, exec_lo, s18
	v_and_b32_e32 v9, 15, v43
	v_mov_b32_e32 v64, 0
	s_mov_b32 s19, 0
	s_mov_b32 s18, exec_lo
                                        ; implicit-def: $vgpr65
                                        ; implicit-def: $vgpr66
                                        ; implicit-def: $vgpr8
	v_cndmask_b32_e32 v68, v69, v9, vcc_lo
	v_cmpx_ne_u32_e32 0, v68
	s_cbranch_execz .LBB2_618
; %bb.611:                              ;   in Loop: Header=BB2_495 Depth=2
	v_cmp_lt_i32_e64 s16, 0, v44
	v_ashrrev_i32_e32 v11, 31, v68
	v_sub_nc_u32_e32 v9, v69, v9
	s_mov_b32 s19, exec_lo
	v_cndmask_b32_e64 v8, 0, v81, s16
	v_lshrrev_b32_e32 v11, 23, v11
	v_cndmask_b32_e32 v9, 0, v9, vcc_lo
	v_sub_nc_u32_e32 v8, v8, v44
	v_add_nc_u32_e32 v11, v68, v11
	v_add_nc_u32_e32 v67, v9, v67
	v_lshl_add_u32 v8, v8, 5, v115
	v_and_b32_e32 v44, 0xfffffe00, v11
	v_ashrrev_i32_e32 v11, 9, v11
	v_ashrrev_i32_e32 v10, 31, v8
	v_sub_nc_u32_e32 v69, v68, v44
	v_lshrrev_b32_e32 v10, 27, v10
	v_cmp_lt_i32_e32 vcc_lo, 15, v69
	v_add_nc_u32_e32 v10, v8, v10
	v_add_co_ci_u32_e64 v11, null, 0, v11, vcc_lo
	v_and_b32_e32 v64, 0xffffffe0, v10
	v_ashrrev_i32_e32 v10, 5, v10
	v_sub_nc_u32_e32 v45, v8, v64
	v_sub_nc_u32_e32 v46, v11, v10
	v_lshlrev_b32_e32 v8, 4, v45
	v_lshl_add_u32 v8, v10, 9, v8
	v_sub_nc_u32_e32 v66, v68, v8
	v_cmpx_lt_i32_e32 15, v66
	s_cbranch_execz .LBB2_615
; %bb.612:                              ;   in Loop: Header=BB2_495 Depth=2
	s_trap 2
	ds_read_b64 v[10:11], v0
	v_add_nc_u32_e32 v64, v8, v67
	s_mov_b32 s22, 0
	v_ashrrev_i32_e32 v65, 31, v64
	v_add_co_u32 v8, s16, v64, v51
	v_add_co_ci_u32_e64 v9, null, v65, v52, s16
	s_waitcnt lgkmcnt(0)
	v_add_co_u32 v10, s16, v10, v64
	v_add_co_ci_u32_e64 v11, null, v11, v65, s16
	v_add_co_u32 v64, s16, v64, v53
	v_add_co_ci_u32_e64 v65, null, v65, v54, s16
.LBB2_613:                              ;   Parent Loop BB2_47 Depth=1
                                        ;     Parent Loop BB2_495 Depth=2
                                        ; =>    This Inner Loop Header: Depth=3
	global_load_dwordx4 v[56:59], v[10:11], off slc
	global_load_dwordx4 v[60:63], v[8:9], off slc
	v_sub_nc_u32_e32 v66, v66, v97
	v_add_co_u32 v8, s16, v8, v97
	v_add_co_ci_u32_e64 v9, null, 0, v9, s16
	v_add_co_u32 v10, s16, v10, v97
	v_add_co_ci_u32_e64 v11, null, 0, v11, s16
	v_cmp_gt_i32_e64 s16, 16, v66
	v_sub_nc_u32_e32 v46, v46, v81
	s_or_b32 s22, s16, s22
	s_waitcnt vmcnt(1)
	v_lshrrev_b32_e32 v47, 8, v56
	v_lshrrev_b32_e32 v72, 8, v57
	;; [unrolled: 1-line block ×4, first 2 shown]
	s_waitcnt vmcnt(0)
	v_lshlrev_b32_sdwa v75, v86, v60 dst_sel:DWORD dst_unused:UNUSED_PAD src0_sel:DWORD src1_sel:BYTE_3
	v_and_b32_e32 v77, 0xff00, v60
	v_lshlrev_b32_sdwa v78, v86, v61 dst_sel:DWORD dst_unused:UNUSED_PAD src0_sel:DWORD src1_sel:BYTE_3
	v_and_b32_e32 v88, 0xff00, v61
	;; [unrolled: 2-line block ×4, first 2 shown]
	v_mul_lo_u32 v76, v56, v60
	v_mul_lo_u32 v79, v57, v61
	;; [unrolled: 1-line block ×4, first 2 shown]
	v_mul_u32_u24_sdwa v60, v56, v60 dst_sel:DWORD dst_unused:UNUSED_PAD src0_sel:WORD_1 src1_sel:WORD_1
	v_mul_u32_u24_sdwa v61, v57, v61 dst_sel:DWORD dst_unused:UNUSED_PAD src0_sel:WORD_1 src1_sel:WORD_1
	;; [unrolled: 1-line block ×4, first 2 shown]
	v_mul_u32_u24_e32 v47, v47, v77
	v_mul_u32_u24_sdwa v56, v56, v75 dst_sel:DWORD dst_unused:UNUSED_PAD src0_sel:BYTE_3 src1_sel:DWORD
	v_mul_u32_u24_e32 v72, v72, v88
	v_mul_u32_u24_sdwa v57, v57, v78 dst_sel:DWORD dst_unused:UNUSED_PAD src0_sel:BYTE_3 src1_sel:DWORD
	;; [unrolled: 2-line block ×4, first 2 shown]
	v_perm_b32 v47, v47, v76, 0xc0c0500
	v_perm_b32 v56, v56, v60, 0xc0c0500
	;; [unrolled: 1-line block ×8, first 2 shown]
	v_lshl_or_b32 v56, v56, 16, v47
	v_lshl_or_b32 v57, v57, 16, v60
	;; [unrolled: 1-line block ×4, first 2 shown]
	global_store_dwordx4 v[64:65], v[56:59], off glc slc
	v_add_co_u32 v64, s17, v64, v97
	v_add_co_ci_u32_e64 v65, null, 0, v65, s17
	s_andn2_b32 exec_lo, exec_lo, s22
	s_cbranch_execnz .LBB2_613
; %bb.614:                              ;   in Loop: Header=BB2_495 Depth=2
	s_or_b32 exec_lo, exec_lo, s22
.LBB2_615:                              ;   in Loop: Header=BB2_495 Depth=2
	s_or_b32 exec_lo, exec_lo, s19
	v_and_b32_e32 v9, 15, v68
	v_mov_b32_e32 v64, 0
	s_mov_b32 s17, 0
	s_mov_b32 s19, exec_lo
                                        ; implicit-def: $vgpr66
                                        ; implicit-def: $vgpr8
	v_cndmask_b32_e32 v65, v69, v9, vcc_lo
	v_cmpx_ne_u32_e32 0, v65
	s_cbranch_execz .LBB2_617
; %bb.616:                              ;   in Loop: Header=BB2_495 Depth=2
	v_cmp_lt_i32_e64 s16, 0, v46
	v_sub_nc_u32_e32 v9, v69, v9
	s_mov_b32 s17, exec_lo
	v_cndmask_b32_e64 v8, 0, v81, s16
	v_cndmask_b32_e32 v9, 0, v9, vcc_lo
	v_sub_nc_u32_e32 v8, v8, v46
	v_add3_u32 v64, v44, v67, v9
	v_lshl_add_u32 v66, v8, 5, v45
	v_ashrrev_i32_e32 v8, 31, v66
	v_lshrrev_b32_e32 v8, 27, v8
	v_add_nc_u32_e32 v8, v66, v8
	v_ashrrev_i32_e32 v8, 5, v8
.LBB2_617:                              ;   in Loop: Header=BB2_495 Depth=2
	s_or_b32 exec_lo, exec_lo, s19
	s_and_b32 s19, s17, exec_lo
.LBB2_618:                              ;   in Loop: Header=BB2_495 Depth=2
	s_or_b32 exec_lo, exec_lo, s18
	s_and_saveexec_b32 s17, s19
	s_cbranch_execz .LBB2_627
.LBB2_619:                              ;   in Loop: Header=BB2_495 Depth=2
	v_ashrrev_i32_e32 v9, 31, v65
	s_mov_b32 s18, exec_lo
	v_add_nc_u32_sdwa v9, v65, v9 dst_sel:DWORD dst_unused:UNUSED_PAD src0_sel:DWORD src1_sel:BYTE_3
	v_ashrrev_i32_e32 v69, 8, v9
	v_ashrrev_i32_e32 v9, 31, v66
	v_sub_nc_u32_e32 v67, v69, v8
	v_lshrrev_b32_e32 v68, 27, v9
	v_cmpx_lt_i32_e32 0, v67
	s_cbranch_execz .LBB2_623
; %bb.620:                              ;   in Loop: Header=BB2_495 Depth=2
	v_add_nc_u32_e32 v9, v66, v68
	s_trap 2
	ds_read_b64 v[10:11], v0
	v_lshlrev_b32_e32 v8, 8, v8
	v_add_co_u32 v53, vcc_lo, 0xe0, v53
	v_and_b32_e32 v9, 0xffffffe0, v9
	v_add_co_ci_u32_e64 v54, null, 0, v54, vcc_lo
	s_mov_b32 s19, 0
	v_sub_nc_u32_e32 v9, v66, v9
	v_add3_u32 v44, v64, v9, v8
	v_ashrrev_i32_e32 v45, 31, v44
	v_add_co_u32 v8, vcc_lo, v44, v51
	v_add_co_ci_u32_e64 v9, null, v45, v52, vcc_lo
	s_waitcnt lgkmcnt(0)
	v_add_co_u32 v10, vcc_lo, v10, v44
	v_add_co_ci_u32_e64 v11, null, v11, v45, vcc_lo
	v_add_co_u32 v51, vcc_lo, v53, v44
	v_add_co_ci_u32_e64 v52, null, v54, v45, vcc_lo
.LBB2_621:                              ;   Parent Loop BB2_47 Depth=1
                                        ;     Parent Loop BB2_495 Depth=2
                                        ; =>    This Inner Loop Header: Depth=3
	s_clause 0x7
	flat_load_ubyte v72, v[8:9] slc
	flat_load_ubyte v73, v[8:9] offset:32 slc
	flat_load_ubyte v74, v[8:9] offset:64 slc
	flat_load_ubyte v75, v[8:9] offset:96 slc
	flat_load_ubyte v76, v[8:9] offset:128 slc
	flat_load_ubyte v77, v[8:9] offset:160 slc
	flat_load_ubyte v78, v[8:9] offset:192 slc
	flat_load_ubyte v79, v[8:9] offset:224 slc
	s_clause 0x7
	flat_load_ubyte v88, v[10:11] slc
	flat_load_ubyte v89, v[10:11] offset:32 slc
	flat_load_ubyte v90, v[10:11] offset:64 slc
	;; [unrolled: 1-line block ×7, first 2 shown]
	v_add_co_u32 v53, vcc_lo, 0xffffff20, v51
	v_add_co_ci_u32_e64 v54, null, -1, v52, vcc_lo
	v_add_co_u32 v44, vcc_lo, 0xffffff40, v51
	v_add_co_ci_u32_e64 v45, null, -1, v52, vcc_lo
	;; [unrolled: 2-line block ×6, first 2 shown]
	v_add_co_u32 v62, vcc_lo, 0xffffffe0, v51
	v_sub_nc_u32_e32 v67, v67, v81
	v_add_co_ci_u32_e64 v63, null, -1, v52, vcc_lo
	v_add_co_u32 v8, vcc_lo, v8, v98
	v_add_co_ci_u32_e64 v9, null, 0, v9, vcc_lo
	v_add_co_u32 v10, vcc_lo, v10, v98
	v_add_co_ci_u32_e64 v11, null, 0, v11, vcc_lo
	v_cmp_gt_i32_e32 vcc_lo, 1, v67
	s_or_b32 s19, vcc_lo, s19
	s_waitcnt vmcnt(7) lgkmcnt(7)
	v_mul_lo_u16 v72, v88, v72
	s_waitcnt vmcnt(6) lgkmcnt(6)
	v_mul_lo_u16 v73, v89, v73
	;; [unrolled: 2-line block ×8, first 2 shown]
	flat_store_byte v[53:54], v72 glc slc
	flat_store_byte v[44:45], v73 glc slc
	;; [unrolled: 1-line block ×8, first 2 shown]
	v_add_co_u32 v51, s16, v51, v98
	v_add_co_ci_u32_e64 v52, null, 0, v52, s16
	s_andn2_b32 exec_lo, exec_lo, s19
	s_cbranch_execnz .LBB2_621
; %bb.622:                              ;   in Loop: Header=BB2_495 Depth=2
	s_or_b32 exec_lo, exec_lo, s19
.LBB2_623:                              ;   in Loop: Header=BB2_495 Depth=2
	s_or_b32 exec_lo, exec_lo, s18
	v_lshlrev_b32_e32 v8, 8, v69
	v_cmp_ne_u32_e32 vcc_lo, v65, v8
	s_and_b32 exec_lo, exec_lo, vcc_lo
	s_cbranch_execz .LBB2_627
; %bb.624:                              ;   in Loop: Header=BB2_495 Depth=2
	v_add_nc_u32_e32 v9, v66, v68
	v_lshlrev_b32_e32 v10, 5, v67
	v_and_b32_e32 v9, 0xffffffe0, v9
	v_sub_nc_u32_e32 v9, v66, v9
	v_sub_nc_u32_e32 v9, v9, v10
	v_add_nc_u32_e32 v8, v8, v9
	v_sub_nc_u32_e32 v53, v65, v8
	v_cmp_lt_i32_e32 vcc_lo, 0, v53
	s_and_b32 exec_lo, exec_lo, vcc_lo
	s_cbranch_execz .LBB2_627
; %bb.625:                              ;   in Loop: Header=BB2_495 Depth=2
	s_trap 2
	ds_read_b128 v[65:68], v0
	ds_read_b64 v[51:52], v0
	v_add_nc_u32_e32 v54, v8, v64
	s_mov_b32 s18, 0
	v_ashrrev_i32_e32 v64, 31, v54
	s_waitcnt lgkmcnt(1)
	v_add_co_u32 v8, vcc_lo, v65, v54
	v_add_co_ci_u32_e64 v9, null, v66, v64, vcc_lo
	v_add_co_u32 v10, vcc_lo, v67, v54
	v_add_co_ci_u32_e64 v11, null, v68, v64, vcc_lo
	s_waitcnt lgkmcnt(0)
	v_add_co_u32 v51, vcc_lo, v51, v54
	v_add_co_ci_u32_e64 v52, null, v52, v64, vcc_lo
	.p2align	6
.LBB2_626:                              ;   Parent Loop BB2_47 Depth=1
                                        ;     Parent Loop BB2_495 Depth=2
                                        ; =>    This Inner Loop Header: Depth=3
	flat_load_ubyte v54, v[8:9] slc
	flat_load_ubyte v64, v[10:11] slc
	v_sub_nc_u32_e32 v53, v53, v82
	v_add_co_u32 v8, vcc_lo, v8, v82
	v_add_co_ci_u32_e64 v9, null, 0, v9, vcc_lo
	v_add_co_u32 v10, vcc_lo, v10, v82
	v_add_co_ci_u32_e64 v11, null, 0, v11, vcc_lo
	v_cmp_gt_i32_e32 vcc_lo, 1, v53
	s_or_b32 s18, vcc_lo, s18
	s_waitcnt vmcnt(0) lgkmcnt(0)
	v_mul_lo_u16 v54, v64, v54
	flat_store_byte v[51:52], v54 glc slc
	v_add_co_u32 v51, s16, v51, v82
	v_add_co_ci_u32_e64 v52, null, 0, v52, s16
	s_andn2_b32 exec_lo, exec_lo, s18
	s_cbranch_execnz .LBB2_626
.LBB2_627:                              ;   in Loop: Header=BB2_495 Depth=2
	s_or_b32 exec_lo, exec_lo, s17
.LBB2_628:                              ;   in Loop: Header=BB2_495 Depth=2
	v_cmp_lt_i32_e64 s16, 0, v43
	s_and_saveexec_b32 s17, s6
	s_cbranch_execz .LBB2_647
.LBB2_629:                              ;   in Loop: Header=BB2_495 Depth=2
	s_and_saveexec_b32 s18, s29
	s_xor_b32 s18, exec_lo, s18
	s_cbranch_execz .LBB2_644
; %bb.630:                              ;   in Loop: Header=BB2_495 Depth=2
	s_and_saveexec_b32 s19, s11
	s_cbranch_execz .LBB2_643
; %bb.631:                              ;   in Loop: Header=BB2_495 Depth=2
	s_mov_b32 s23, exec_lo
	s_mov_b32 s22, exec_lo
	v_mbcnt_lo_u32_b32 v8, s23, 0
	s_waitcnt vmcnt(0) lgkmcnt(0)
	s_waitcnt_vscnt null, 0x0
	buffer_gl1_inv
	buffer_gl0_inv
	v_cmpx_eq_u32_e32 0, v8
	s_cbranch_execz .LBB2_633
; %bb.632:                              ;   in Loop: Header=BB2_495 Depth=2
	s_bcnt1_i32_b32 s23, s23
	v_mov_b32_e32 v9, v2
	v_mov_b32_e32 v8, s23
	ds_add_u64 v0, v[8:9]
	s_trap 2
.LBB2_633:                              ;   in Loop: Header=BB2_495 Depth=2
	s_or_b32 exec_lo, exec_lo, s22
	s_trap 2
	ds_read_b64 v[8:9], v0
	s_waitcnt lgkmcnt(0)
	buffer_gl0_inv
	v_add_co_u32 v12, vcc_lo, v12, v81
	v_add_co_ci_u32_e64 v13, null, 0, v13, vcc_lo
	s_mov_b32 s22, exec_lo
	v_cmpx_lt_u64_e64 v[8:9], v[12:13]
	s_cbranch_execz .LBB2_642
; %bb.634:                              ;   in Loop: Header=BB2_495 Depth=2
	s_mov_b32 s23, 0
	s_mov_b32 s74, 0
                                        ; implicit-def: $sgpr72
                                        ; implicit-def: $sgpr73
	s_inst_prefetch 0x1
	s_branch .LBB2_636
	.p2align	6
.LBB2_635:                              ;   in Loop: Header=BB2_636 Depth=3
	s_or_b32 exec_lo, exec_lo, s76
	s_and_b32 s75, exec_lo, s77
	s_or_b32 s23, s75, s23
	s_andn2_b32 s72, s72, exec_lo
	s_and_b32 s75, s73, exec_lo
	s_or_b32 s72, s72, s75
	s_andn2_b32 exec_lo, exec_lo, s23
	s_cbranch_execz .LBB2_640
.LBB2_636:                              ;   Parent Loop BB2_47 Depth=1
                                        ;     Parent Loop BB2_495 Depth=2
                                        ; =>    This Inner Loop Header: Depth=3
	s_add_i32 s74, s74, 1
	s_cmpk_lg_i32 s74, 0x2710
	s_cselect_b32 s75, -1, 0
	s_and_b32 vcc_lo, exec_lo, s75
	s_cbranch_vccz .LBB2_638
; %bb.637:                              ;   in Loop: Header=BB2_636 Depth=3
	s_mov_b32 s77, -1
	s_or_b32 s73, s73, exec_lo
	s_and_saveexec_b32 s76, s75
	s_cbranch_execz .LBB2_635
	s_branch .LBB2_639
	.p2align	6
.LBB2_638:                              ;   in Loop: Header=BB2_636 Depth=3
	s_trap 2
	ds_read_b64 v[8:9], v0
	s_andn2_b32 s75, s75, exec_lo
	s_mov_b32 s74, 0
	s_waitcnt lgkmcnt(0)
	flat_load_dword v8, v[8:9] glc dlc
	s_waitcnt vmcnt(0) lgkmcnt(0)
	buffer_gl1_inv
	buffer_gl0_inv
	v_cmp_eq_u32_e32 vcc_lo, 0, v8
	s_and_b32 s76, vcc_lo, exec_lo
	s_or_b32 s75, s75, s76
	s_mov_b32 s77, -1
	s_or_b32 s73, s73, exec_lo
	s_and_saveexec_b32 s76, s75
	s_cbranch_execz .LBB2_635
.LBB2_639:                              ;   in Loop: Header=BB2_636 Depth=3
	s_sleep 1
	s_trap 2
	ds_read_b64 v[8:9], v0
	s_waitcnt lgkmcnt(0)
	buffer_gl0_inv
	s_andn2_b32 s73, s73, exec_lo
	v_cmp_ge_u64_e32 vcc_lo, v[8:9], v[12:13]
	s_orn2_b32 s77, vcc_lo, exec_lo
	s_branch .LBB2_635
.LBB2_640:                              ;   in Loop: Header=BB2_495 Depth=2
	s_inst_prefetch 0x2
	s_or_b32 exec_lo, exec_lo, s23
	s_and_saveexec_b32 s23, s72
	s_xor_b32 s23, exec_lo, s23
	s_cbranch_execz .LBB2_642
; %bb.641:                              ;   in Loop: Header=BB2_495 Depth=2
	ds_write_b32 v0, v84
	s_trap 2
.LBB2_642:                              ;   in Loop: Header=BB2_495 Depth=2
	s_or_b32 exec_lo, exec_lo, s22
	;;#ASMSTART
	s_wakeup
	;;#ASMEND
.LBB2_643:                              ;   in Loop: Header=BB2_495 Depth=2
	s_or_b32 exec_lo, exec_lo, s19
.LBB2_644:                              ;   in Loop: Header=BB2_495 Depth=2
	s_andn2_saveexec_b32 s18, s18
	s_cbranch_execz .LBB2_646
; %bb.645:                              ;   in Loop: Header=BB2_495 Depth=2
	s_waitcnt vmcnt(0) lgkmcnt(0)
	s_waitcnt_vscnt null, 0x0
	buffer_gl1_inv
	buffer_gl0_inv
	s_barrier
.LBB2_646:                              ;   in Loop: Header=BB2_495 Depth=2
	s_or_b32 exec_lo, exec_lo, s18
.LBB2_647:                              ;   in Loop: Header=BB2_495 Depth=2
	s_or_b32 exec_lo, exec_lo, s17
	v_and_b32_e32 v8, 16, v71
	s_and_saveexec_b32 s17, s12
	s_xor_b32 s17, exec_lo, s17
	s_cbranch_execz .LBB2_651
; %bb.648:                              ;   in Loop: Header=BB2_495 Depth=2
	v_and_b32_e32 v8, 16, v71
	v_cmp_ne_u32_e32 vcc_lo, 0, v8
	v_and_b32_e32 v8, 16, v71
	s_and_b32 s18, vcc_lo, s16
	s_and_saveexec_b32 s16, s18
	s_cbranch_execz .LBB2_650
; %bb.649:                              ;   in Loop: Header=BB2_495 Depth=2
	v_mov_b32_e32 v8, 1
	s_waitcnt vmcnt(0) lgkmcnt(0)
	s_waitcnt_vscnt null, 0x0
	buffer_gl1_inv
	buffer_gl0_inv
.LBB2_650:                              ;   in Loop: Header=BB2_495 Depth=2
	s_or_b32 exec_lo, exec_lo, s16
.LBB2_651:                              ;   in Loop: Header=BB2_495 Depth=2
	s_andn2_saveexec_b32 s16, s17
	s_cbranch_execz .LBB2_670
; %bb.652:                              ;   in Loop: Header=BB2_495 Depth=2
	s_and_saveexec_b32 s17, s29
	s_xor_b32 s17, exec_lo, s17
	s_cbranch_execz .LBB2_667
; %bb.653:                              ;   in Loop: Header=BB2_495 Depth=2
	s_and_saveexec_b32 s18, s11
	s_cbranch_execz .LBB2_666
; %bb.654:                              ;   in Loop: Header=BB2_495 Depth=2
	s_mov_b32 s22, exec_lo
	s_mov_b32 s19, exec_lo
	v_mbcnt_lo_u32_b32 v9, s22, 0
	;;#ASMSTART
	s_waitcnt lgkmcnt(0) vmcnt(0)
	;;#ASMEND
	v_cmpx_eq_u32_e32 0, v9
	s_cbranch_execz .LBB2_656
; %bb.655:                              ;   in Loop: Header=BB2_495 Depth=2
	s_bcnt1_i32_b32 s22, s22
	v_mov_b32_e32 v10, v2
	v_mov_b32_e32 v9, s22
	s_waitcnt vmcnt(0) lgkmcnt(0)
	s_waitcnt_vscnt null, 0x0
	ds_add_u64 v0, v[9:10]
	s_trap 2
.LBB2_656:                              ;   in Loop: Header=BB2_495 Depth=2
	s_or_b32 exec_lo, exec_lo, s19
	s_trap 2
	ds_read_b64 v[9:10], v0
	s_waitcnt vmcnt(0) lgkmcnt(0)
	buffer_gl0_inv
	v_add_co_u32 v12, vcc_lo, v12, v81
	v_add_co_ci_u32_e64 v13, null, 0, v13, vcc_lo
	s_mov_b32 s19, exec_lo
	v_cmpx_lt_u64_e64 v[9:10], v[12:13]
	s_cbranch_execz .LBB2_665
; %bb.657:                              ;   in Loop: Header=BB2_495 Depth=2
	s_mov_b32 s22, 0
	s_mov_b32 s73, 0
                                        ; implicit-def: $sgpr23
                                        ; implicit-def: $sgpr72
	s_inst_prefetch 0x1
	s_branch .LBB2_659
	.p2align	6
.LBB2_658:                              ;   in Loop: Header=BB2_659 Depth=3
	s_or_b32 exec_lo, exec_lo, s75
	s_and_b32 s74, exec_lo, s76
	s_or_b32 s22, s74, s22
	s_andn2_b32 s23, s23, exec_lo
	s_and_b32 s74, s72, exec_lo
	s_or_b32 s23, s23, s74
	s_andn2_b32 exec_lo, exec_lo, s22
	s_cbranch_execz .LBB2_663
.LBB2_659:                              ;   Parent Loop BB2_47 Depth=1
                                        ;     Parent Loop BB2_495 Depth=2
                                        ; =>    This Inner Loop Header: Depth=3
	s_add_i32 s73, s73, 1
	s_cmpk_lg_i32 s73, 0x2710
	s_cselect_b32 s74, -1, 0
	s_and_b32 vcc_lo, exec_lo, s74
	s_cbranch_vccz .LBB2_661
; %bb.660:                              ;   in Loop: Header=BB2_659 Depth=3
	s_mov_b32 s76, -1
	s_or_b32 s72, s72, exec_lo
	s_and_saveexec_b32 s75, s74
	s_cbranch_execz .LBB2_658
	s_branch .LBB2_662
	.p2align	6
.LBB2_661:                              ;   in Loop: Header=BB2_659 Depth=3
	s_trap 2
	ds_read_b64 v[9:10], v0
	s_andn2_b32 s74, s74, exec_lo
	s_mov_b32 s73, 0
	s_waitcnt lgkmcnt(0)
	s_waitcnt_vscnt null, 0x0
	flat_load_dword v9, v[9:10] glc dlc
	s_waitcnt vmcnt(0) lgkmcnt(0)
	buffer_gl1_inv
	buffer_gl0_inv
	v_cmp_eq_u32_e32 vcc_lo, 0, v9
	s_and_b32 s75, vcc_lo, exec_lo
	s_or_b32 s74, s74, s75
	s_mov_b32 s76, -1
	s_or_b32 s72, s72, exec_lo
	s_and_saveexec_b32 s75, s74
	s_cbranch_execz .LBB2_658
.LBB2_662:                              ;   in Loop: Header=BB2_659 Depth=3
	s_sleep 1
	s_trap 2
	ds_read_b64 v[9:10], v0
	s_waitcnt lgkmcnt(0)
	buffer_gl0_inv
	s_andn2_b32 s72, s72, exec_lo
	v_cmp_ge_u64_e32 vcc_lo, v[9:10], v[12:13]
	s_orn2_b32 s76, vcc_lo, exec_lo
	s_branch .LBB2_658
.LBB2_663:                              ;   in Loop: Header=BB2_495 Depth=2
	s_inst_prefetch 0x2
	s_or_b32 exec_lo, exec_lo, s22
	s_and_saveexec_b32 s22, s23
	s_xor_b32 s22, exec_lo, s22
	s_cbranch_execz .LBB2_665
; %bb.664:                              ;   in Loop: Header=BB2_495 Depth=2
	ds_write_b32 v0, v84
	s_trap 2
.LBB2_665:                              ;   in Loop: Header=BB2_495 Depth=2
	s_or_b32 exec_lo, exec_lo, s19
	;;#ASMSTART
	s_wakeup
	;;#ASMEND
.LBB2_666:                              ;   in Loop: Header=BB2_495 Depth=2
	s_or_b32 exec_lo, exec_lo, s18
.LBB2_667:                              ;   in Loop: Header=BB2_495 Depth=2
	s_andn2_saveexec_b32 s17, s17
	s_cbranch_execz .LBB2_669
; %bb.668:                              ;   in Loop: Header=BB2_495 Depth=2
	;;#ASMSTART
	s_waitcnt lgkmcnt(0) vmcnt(0)
	;;#ASMEND
	s_barrier
.LBB2_669:                              ;   in Loop: Header=BB2_495 Depth=2
	s_or_b32 exec_lo, exec_lo, s17
.LBB2_670:                              ;   in Loop: Header=BB2_495 Depth=2
	s_or_b32 exec_lo, exec_lo, s16
	v_cmp_ne_u32_e32 vcc_lo, 0, v8
	s_xor_b32 s16, s7, -1
	s_and_b32 s17, vcc_lo, s16
	s_and_saveexec_b32 s16, s17
	s_cbranch_execz .LBB2_672
; %bb.671:                              ;   in Loop: Header=BB2_495 Depth=2
	s_waitcnt vmcnt(0) lgkmcnt(0)
	s_waitcnt_vscnt null, 0x0
	flat_store_dword v[24:25], v84
.LBB2_672:                              ;   in Loop: Header=BB2_495 Depth=2
	s_or_b32 exec_lo, exec_lo, s16
	v_and_b32_e32 v8, 48, v71
	s_mov_b32 s16, exec_lo
	v_cmpx_ne_u32_e32 0, v8
	s_cbranch_execz .LBB2_494
; %bb.673:                              ;   in Loop: Header=BB2_495 Depth=2
	v_add_co_u32 v38, vcc_lo, v38, 2
	v_add_co_ci_u32_e64 v39, null, 0, v39, vcc_lo
	s_waitcnt vmcnt(0) lgkmcnt(0)
	s_waitcnt_vscnt null, 0x0
	flat_store_dwordx2 v[20:21], v[38:39]
	s_branch .LBB2_494
.LBB2_674:                              ;   in Loop: Header=BB2_47 Depth=1
	s_or_b32 exec_lo, exec_lo, s61
.LBB2_675:                              ;   in Loop: Header=BB2_47 Depth=1
	s_or_b32 exec_lo, exec_lo, s21
	s_mov_b32 s17, exec_lo
	v_cmpx_gt_i32_e32 2, v10
	s_cbranch_execz .LBB2_751
; %bb.676:                              ;   in Loop: Header=BB2_47 Depth=1
	v_cmp_eq_u32_e64 s19, 0, v10
	s_mov_b32 s18, 0
	s_branch .LBB2_678
.LBB2_677:                              ;   in Loop: Header=BB2_678 Depth=2
	s_or_b32 exec_lo, exec_lo, s16
	v_add_nc_u32_e32 v55, v50, v55
	s_mov_b32 s19, 0
	s_andn2_b32 exec_lo, exec_lo, s18
	s_cbranch_execz .LBB2_750
.LBB2_678:                              ;   Parent Loop BB2_47 Depth=1
                                        ; =>  This Loop Header: Depth=2
                                        ;       Child Loop BB2_684 Depth 3
                                        ;       Child Loop BB2_712 Depth 3
	;; [unrolled: 1-line block ×3, first 2 shown]
	v_sub_nc_u32_e32 v8, v3, v55
	v_and_b32_e32 v9, 12, v71
	s_mov_b32 s21, exec_lo
	v_min_i32_e32 v50, v50, v8
	v_cmpx_ne_u32_e32 0, v9
	s_cbranch_execz .LBB2_704
; %bb.679:                              ;   in Loop: Header=BB2_678 Depth=2
	v_and_b32_e32 v53, 8, v71
	s_mov_b32 s22, exec_lo
	s_waitcnt vmcnt(0) lgkmcnt(1)
	v_add_co_u32 v10, vcc_lo, v26, v53
	v_add_co_ci_u32_e64 v11, null, 0, v27, vcc_lo
	v_add_co_u32 v8, vcc_lo, v38, 2
	v_add_co_ci_u32_e64 v9, null, 0, v39, vcc_lo
	v_cmpx_lt_u64_e64 v[10:11], v[8:9]
	s_cbranch_execz .LBB2_691
; %bb.680:                              ;   in Loop: Header=BB2_678 Depth=2
	v_and_b32_e32 v10, 64, v71
	s_mov_b32 s23, 0
	s_mov_b32 s72, 0
                                        ; implicit-def: $sgpr61
                                        ; implicit-def: $sgpr62
                                        ; implicit-def: $sgpr63
	v_cmp_eq_u32_e32 vcc_lo, 0, v10
	s_branch .LBB2_684
.LBB2_681:                              ;   in Loop: Header=BB2_684 Depth=3
	s_waitcnt vmcnt(0) lgkmcnt(0)
	v_add_co_u32 v51, s16, v26, v53
	v_add_co_ci_u32_e64 v52, null, 0, v27, s16
	s_or_b32 s75, s75, exec_lo
	v_cmp_ge_u64_e64 s16, v[51:52], v[8:9]
	s_orn2_b32 s74, s16, exec_lo
.LBB2_682:                              ;   in Loop: Header=BB2_684 Depth=3
	s_or_b32 exec_lo, exec_lo, s77
	s_andn2_b32 s16, s63, exec_lo
	s_and_b32 s63, s75, exec_lo
	s_andn2_b32 s62, s62, exec_lo
	s_and_b32 s74, s74, exec_lo
	s_or_b32 s63, s16, s63
	s_or_b32 s62, s62, s74
.LBB2_683:                              ;   in Loop: Header=BB2_684 Depth=3
	s_or_b32 exec_lo, exec_lo, s73
	s_and_b32 s16, exec_lo, s62
	s_or_b32 s23, s16, s23
	s_andn2_b32 s16, s61, exec_lo
	s_and_b32 s61, s63, exec_lo
	s_or_b32 s61, s16, s61
	s_andn2_b32 exec_lo, exec_lo, s23
	s_cbranch_execz .LBB2_688
.LBB2_684:                              ;   Parent Loop BB2_47 Depth=1
                                        ;     Parent Loop BB2_678 Depth=2
                                        ; =>    This Inner Loop Header: Depth=3
	s_sleep 1
	s_waitcnt vmcnt(0) lgkmcnt(0)
	flat_load_dwordx2 v[26:27], v[20:21] glc dlc
	s_or_b32 s63, s63, exec_lo
	s_or_b32 s62, s62, exec_lo
                                        ; implicit-def: $vgpr10
	s_and_saveexec_b32 s73, vcc_lo
	s_cbranch_execz .LBB2_683
; %bb.685:                              ;   in Loop: Header=BB2_684 Depth=3
	s_cmpk_lt_i32 s72, 0x270f
	s_mov_b32 s74, -1
	s_cselect_b32 s76, -1, 0
	s_cmpk_gt_i32 s72, 0x270e
	s_cbranch_scc0 .LBB2_687
; %bb.686:                              ;   in Loop: Header=BB2_684 Depth=3
	s_trap 2
	ds_read_b64 v[10:11], v0
	s_andn2_b32 s72, s76, exec_lo
	s_mov_b32 s75, 0
	s_waitcnt vmcnt(0) lgkmcnt(0)
	s_waitcnt_vscnt null, 0x0
	flat_load_dword v10, v[10:11] glc dlc
	s_waitcnt vmcnt(0) lgkmcnt(0)
	buffer_gl1_inv
	buffer_gl0_inv
	v_cmp_eq_u32_e64 s16, 0, v10
	s_and_b32 s16, s16, exec_lo
	s_or_b32 s76, s72, s16
	s_mov_b32 s72, 0
	s_and_saveexec_b32 s77, s76
	s_cbranch_execz .LBB2_682
	s_branch .LBB2_681
.LBB2_687:                              ;   in Loop: Header=BB2_684 Depth=3
	s_add_i32 s72, s72, 1
	s_mov_b32 s75, -1
                                        ; implicit-def: $vgpr10
	s_and_saveexec_b32 s77, s76
	s_cbranch_execz .LBB2_682
	s_branch .LBB2_681
.LBB2_688:                              ;   in Loop: Header=BB2_678 Depth=2
	s_or_b32 exec_lo, exec_lo, s23
	s_xor_b32 s16, s61, -1
	s_and_saveexec_b32 s23, s16
	s_xor_b32 s16, exec_lo, s23
	s_cbranch_execz .LBB2_690
; %bb.689:                              ;   in Loop: Header=BB2_678 Depth=2
	v_or_b32_e32 v71, 64, v71
	s_waitcnt vmcnt(0) lgkmcnt(0)
	s_waitcnt_vscnt null, 0x0
	ds_write_b32 v0, v10
	s_trap 2
.LBB2_690:                              ;   in Loop: Header=BB2_678 Depth=2
	s_or_b32 exec_lo, exec_lo, s16
.LBB2_691:                              ;   in Loop: Header=BB2_678 Depth=2
	s_or_b32 exec_lo, exec_lo, s22
	v_and_b32_e32 v10, 0x108, v71
	;;#ASMSTART
	s_wakeup
	;;#ASMEND
	v_cmp_ne_u32_e32 vcc_lo, 0x108, v10
                                        ; implicit-def: $vgpr10_vgpr11
	s_and_saveexec_b32 s16, vcc_lo
	s_xor_b32 s16, exec_lo, s16
; %bb.692:                              ;   in Loop: Header=BB2_678 Depth=2
	v_and_b32_e32 v10, 7, v38
	v_mov_b32_e32 v11, v2
                                        ; implicit-def: $vgpr38_vgpr39
; %bb.693:                              ;   in Loop: Header=BB2_678 Depth=2
	s_andn2_saveexec_b32 s16, s16
	s_cbranch_execz .LBB2_695
; %bb.694:                              ;   in Loop: Header=BB2_678 Depth=2
	v_and_b32_e32 v10, 7, v38
	v_ashrrev_i32_e32 v51, 31, v50
	v_mov_b32_e32 v11, v2
	v_mad_u64_u32 v[38:39], null, v10, 24, v[6:7]
	flat_store_dwordx2 v[38:39], v[50:51] offset:8
.LBB2_695:                              ;   in Loop: Header=BB2_678 Depth=2
	s_or_b32 exec_lo, exec_lo, s16
	v_and_b32_e32 v38, 0x100, v71
	s_mov_b32 s16, -1
	v_cmp_ne_u32_e32 vcc_lo, 0, v38
                                        ; implicit-def: $vgpr38_vgpr39
	s_and_saveexec_b32 s22, vcc_lo
	s_cbranch_execz .LBB2_699
; %bb.696:                              ;   in Loop: Header=BB2_678 Depth=2
	v_mad_u64_u32 v[51:52], null, v10, 24, v[6:7]
	v_mov_b32_e32 v38, v52
	v_mad_u64_u32 v[38:39], null, v11, 24, v[38:39]
	v_mov_b32_e32 v52, v38
	flat_load_dword v38, v[51:52]
	s_waitcnt vmcnt(0) lgkmcnt(0)
	v_cmp_eq_u32_e64 s16, 1, v38
	v_cmp_ne_u32_e32 vcc_lo, 1, v38
                                        ; implicit-def: $vgpr38_vgpr39
	s_and_saveexec_b32 s23, s16
	s_cbranch_execz .LBB2_698
; %bb.697:                              ;   in Loop: Header=BB2_678 Depth=2
	flat_load_dword v38, v[51:52] offset:4 glc dlc
	s_waitcnt vmcnt(0) lgkmcnt(0)
	v_ashrrev_i32_e32 v39, 31, v38
.LBB2_698:                              ;   in Loop: Header=BB2_678 Depth=2
	s_or_b32 exec_lo, exec_lo, s23
	s_orn2_b32 s16, vcc_lo, exec_lo
.LBB2_699:                              ;   in Loop: Header=BB2_678 Depth=2
	s_or_b32 exec_lo, exec_lo, s22
	s_and_saveexec_b32 s22, s16
; %bb.700:                              ;   in Loop: Header=BB2_678 Depth=2
	v_mul_lo_u32 v11, v11, v80
	v_mul_lo_u32 v51, v10, v30
	v_mad_u64_u32 v[38:39], null, v10, v80, 0
	v_add3_u32 v39, v39, v51, v11
; %bb.701:                              ;   in Loop: Header=BB2_678 Depth=2
	s_or_b32 exec_lo, exec_lo, s22
	v_cmp_eq_u32_e32 vcc_lo, 0, v53
	v_and_b32_e32 v52, 0x2000, v71
	s_mov_b32 s16, exec_lo
	v_cndmask_b32_e32 v51, 0xd0, v85, vcc_lo
	v_add_co_u32 v10, vcc_lo, v22, v38
	v_add_co_ci_u32_e64 v11, null, v23, v39, vcc_lo
	v_add_nc_u32_e32 v38, v0, v51
	ds_write_b64 v38, v[10:11] offset:584
	v_cmpx_ne_u32_e32 0, v52
	s_cbranch_execz .LBB2_703
; %bb.702:                              ;   in Loop: Header=BB2_678 Depth=2
	ds_read_b64 v[10:11], v0 offset:872
	s_waitcnt lgkmcnt(0)
	v_add_co_u32 v10, vcc_lo, v10, 1
	v_add_co_ci_u32_e64 v11, null, 0, v11, vcc_lo
	ds_write_b64 v0, v[10:11] offset:872
.LBB2_703:                              ;   in Loop: Header=BB2_678 Depth=2
	s_or_b32 exec_lo, exec_lo, s16
	v_mov_b32_e32 v39, v9
	v_mov_b32_e32 v38, v8
.LBB2_704:                              ;   in Loop: Header=BB2_678 Depth=2
	s_or_b32 exec_lo, exec_lo, s21
	s_xor_b32 s16, s19, -1
	s_and_b32 s16, exec_lo, s16
	s_or_b32 s18, s16, s18
	s_and_saveexec_b32 s16, s6
	s_cbranch_execz .LBB2_723
; %bb.705:                              ;   in Loop: Header=BB2_678 Depth=2
	s_and_saveexec_b32 s19, s29
	s_xor_b32 s19, exec_lo, s19
	s_cbranch_execz .LBB2_720
; %bb.706:                              ;   in Loop: Header=BB2_678 Depth=2
	s_and_saveexec_b32 s21, s11
	s_cbranch_execz .LBB2_719
; %bb.707:                              ;   in Loop: Header=BB2_678 Depth=2
	s_mov_b32 s23, exec_lo
	s_mov_b32 s22, exec_lo
	v_mbcnt_lo_u32_b32 v8, s23, 0
	s_waitcnt vmcnt(0) lgkmcnt(0)
	s_waitcnt_vscnt null, 0x0
	buffer_gl1_inv
	buffer_gl0_inv
	v_cmpx_eq_u32_e32 0, v8
	s_cbranch_execz .LBB2_709
; %bb.708:                              ;   in Loop: Header=BB2_678 Depth=2
	s_bcnt1_i32_b32 s23, s23
	v_mov_b32_e32 v9, v2
	v_mov_b32_e32 v8, s23
	ds_add_u64 v0, v[8:9]
	s_trap 2
.LBB2_709:                              ;   in Loop: Header=BB2_678 Depth=2
	s_or_b32 exec_lo, exec_lo, s22
	s_trap 2
	ds_read_b64 v[8:9], v0
	s_waitcnt lgkmcnt(0)
	buffer_gl0_inv
	v_add_co_u32 v12, vcc_lo, v12, v81
	v_add_co_ci_u32_e64 v13, null, 0, v13, vcc_lo
	s_mov_b32 s22, exec_lo
	v_cmpx_lt_u64_e64 v[8:9], v[12:13]
	s_cbranch_execz .LBB2_718
; %bb.710:                              ;   in Loop: Header=BB2_678 Depth=2
	s_mov_b32 s23, 0
	s_mov_b32 s63, 0
                                        ; implicit-def: $sgpr61
                                        ; implicit-def: $sgpr62
	s_inst_prefetch 0x1
	s_branch .LBB2_712
	.p2align	6
.LBB2_711:                              ;   in Loop: Header=BB2_712 Depth=3
	s_or_b32 exec_lo, exec_lo, s73
	s_and_b32 s72, exec_lo, s74
	s_or_b32 s23, s72, s23
	s_andn2_b32 s61, s61, exec_lo
	s_and_b32 s72, s62, exec_lo
	s_or_b32 s61, s61, s72
	s_andn2_b32 exec_lo, exec_lo, s23
	s_cbranch_execz .LBB2_716
.LBB2_712:                              ;   Parent Loop BB2_47 Depth=1
                                        ;     Parent Loop BB2_678 Depth=2
                                        ; =>    This Inner Loop Header: Depth=3
	s_add_i32 s63, s63, 1
	s_cmpk_lg_i32 s63, 0x2710
	s_cselect_b32 s72, -1, 0
	s_and_b32 vcc_lo, exec_lo, s72
	s_cbranch_vccz .LBB2_714
; %bb.713:                              ;   in Loop: Header=BB2_712 Depth=3
	s_mov_b32 s74, -1
	s_or_b32 s62, s62, exec_lo
	s_and_saveexec_b32 s73, s72
	s_cbranch_execz .LBB2_711
	s_branch .LBB2_715
	.p2align	6
.LBB2_714:                              ;   in Loop: Header=BB2_712 Depth=3
	s_trap 2
	ds_read_b64 v[8:9], v0
	s_andn2_b32 s72, s72, exec_lo
	s_mov_b32 s63, 0
	s_waitcnt lgkmcnt(0)
	flat_load_dword v8, v[8:9] glc dlc
	s_waitcnt vmcnt(0) lgkmcnt(0)
	buffer_gl1_inv
	buffer_gl0_inv
	v_cmp_eq_u32_e32 vcc_lo, 0, v8
	s_and_b32 s73, vcc_lo, exec_lo
	s_or_b32 s72, s72, s73
	s_mov_b32 s74, -1
	s_or_b32 s62, s62, exec_lo
	s_and_saveexec_b32 s73, s72
	s_cbranch_execz .LBB2_711
.LBB2_715:                              ;   in Loop: Header=BB2_712 Depth=3
	s_sleep 1
	s_trap 2
	ds_read_b64 v[8:9], v0
	s_waitcnt lgkmcnt(0)
	buffer_gl0_inv
	s_andn2_b32 s62, s62, exec_lo
	v_cmp_ge_u64_e32 vcc_lo, v[8:9], v[12:13]
	s_orn2_b32 s74, vcc_lo, exec_lo
	s_branch .LBB2_711
.LBB2_716:                              ;   in Loop: Header=BB2_678 Depth=2
	s_inst_prefetch 0x2
	s_or_b32 exec_lo, exec_lo, s23
	s_and_saveexec_b32 s23, s61
	s_xor_b32 s23, exec_lo, s23
	s_cbranch_execz .LBB2_718
; %bb.717:                              ;   in Loop: Header=BB2_678 Depth=2
	ds_write_b32 v0, v84
	s_trap 2
.LBB2_718:                              ;   in Loop: Header=BB2_678 Depth=2
	s_or_b32 exec_lo, exec_lo, s22
	;;#ASMSTART
	s_wakeup
	;;#ASMEND
.LBB2_719:                              ;   in Loop: Header=BB2_678 Depth=2
	s_or_b32 exec_lo, exec_lo, s21
.LBB2_720:                              ;   in Loop: Header=BB2_678 Depth=2
	s_andn2_saveexec_b32 s19, s19
	s_cbranch_execz .LBB2_722
; %bb.721:                              ;   in Loop: Header=BB2_678 Depth=2
	s_waitcnt vmcnt(0) lgkmcnt(0)
	s_waitcnt_vscnt null, 0x0
	buffer_gl1_inv
	buffer_gl0_inv
	s_barrier
.LBB2_722:                              ;   in Loop: Header=BB2_678 Depth=2
	s_or_b32 exec_lo, exec_lo, s19
.LBB2_723:                              ;   in Loop: Header=BB2_678 Depth=2
	s_or_b32 exec_lo, exec_lo, s16
	v_and_b32_e32 v8, 16, v71
	s_and_saveexec_b32 s16, s12
	s_xor_b32 s19, exec_lo, s16
	s_cbranch_execz .LBB2_727
; %bb.724:                              ;   in Loop: Header=BB2_678 Depth=2
	s_trap 2
	ds_read_b32 v8, v0
	v_cmp_lt_i32_e32 vcc_lo, 0, v50
	s_waitcnt lgkmcnt(0)
	v_readfirstlane_b32 s16, v8
	v_and_b32_e32 v8, 16, v71
	s_cmp_eq_u32 s16, 0
	v_cmp_ne_u32_e64 s16, 0, v8
	s_cselect_b32 s21, -1, 0
	v_and_b32_e32 v8, 16, v71
	s_and_b32 s21, vcc_lo, s21
	s_and_b32 s21, s16, s21
	s_and_saveexec_b32 s16, s21
	s_cbranch_execz .LBB2_726
; %bb.725:                              ;   in Loop: Header=BB2_678 Depth=2
	v_mov_b32_e32 v8, 1
	s_waitcnt vmcnt(0)
	s_waitcnt_vscnt null, 0x0
	buffer_gl1_inv
	buffer_gl0_inv
.LBB2_726:                              ;   in Loop: Header=BB2_678 Depth=2
	s_or_b32 exec_lo, exec_lo, s16
.LBB2_727:                              ;   in Loop: Header=BB2_678 Depth=2
	s_andn2_saveexec_b32 s16, s19
	s_cbranch_execz .LBB2_746
; %bb.728:                              ;   in Loop: Header=BB2_678 Depth=2
	s_and_saveexec_b32 s19, s29
	s_xor_b32 s19, exec_lo, s19
	s_cbranch_execz .LBB2_743
; %bb.729:                              ;   in Loop: Header=BB2_678 Depth=2
	s_and_saveexec_b32 s21, s11
	s_cbranch_execz .LBB2_742
; %bb.730:                              ;   in Loop: Header=BB2_678 Depth=2
	s_mov_b32 s23, exec_lo
	s_mov_b32 s22, exec_lo
	v_mbcnt_lo_u32_b32 v9, s23, 0
	;;#ASMSTART
	s_waitcnt lgkmcnt(0) vmcnt(0)
	;;#ASMEND
	v_cmpx_eq_u32_e32 0, v9
	s_cbranch_execz .LBB2_732
; %bb.731:                              ;   in Loop: Header=BB2_678 Depth=2
	s_bcnt1_i32_b32 s23, s23
	v_mov_b32_e32 v10, v2
	v_mov_b32_e32 v9, s23
	s_waitcnt vmcnt(0) lgkmcnt(0)
	s_waitcnt_vscnt null, 0x0
	ds_add_u64 v0, v[9:10]
	s_trap 2
.LBB2_732:                              ;   in Loop: Header=BB2_678 Depth=2
	s_or_b32 exec_lo, exec_lo, s22
	s_trap 2
	ds_read_b64 v[9:10], v0
	s_waitcnt vmcnt(0) lgkmcnt(0)
	buffer_gl0_inv
	v_add_co_u32 v12, vcc_lo, v12, v81
	v_add_co_ci_u32_e64 v13, null, 0, v13, vcc_lo
	s_mov_b32 s22, exec_lo
	v_cmpx_lt_u64_e64 v[9:10], v[12:13]
	s_cbranch_execz .LBB2_741
; %bb.733:                              ;   in Loop: Header=BB2_678 Depth=2
	s_mov_b32 s23, 0
	s_mov_b32 s63, 0
                                        ; implicit-def: $sgpr61
                                        ; implicit-def: $sgpr62
	s_inst_prefetch 0x1
	s_branch .LBB2_735
	.p2align	6
.LBB2_734:                              ;   in Loop: Header=BB2_735 Depth=3
	s_or_b32 exec_lo, exec_lo, s73
	s_and_b32 s72, exec_lo, s74
	s_or_b32 s23, s72, s23
	s_andn2_b32 s61, s61, exec_lo
	s_and_b32 s72, s62, exec_lo
	s_or_b32 s61, s61, s72
	s_andn2_b32 exec_lo, exec_lo, s23
	s_cbranch_execz .LBB2_739
.LBB2_735:                              ;   Parent Loop BB2_47 Depth=1
                                        ;     Parent Loop BB2_678 Depth=2
                                        ; =>    This Inner Loop Header: Depth=3
	s_add_i32 s63, s63, 1
	s_cmpk_lg_i32 s63, 0x2710
	s_cselect_b32 s72, -1, 0
	s_and_b32 vcc_lo, exec_lo, s72
	s_cbranch_vccz .LBB2_737
; %bb.736:                              ;   in Loop: Header=BB2_735 Depth=3
	s_mov_b32 s74, -1
	s_or_b32 s62, s62, exec_lo
	s_and_saveexec_b32 s73, s72
	s_cbranch_execz .LBB2_734
	s_branch .LBB2_738
	.p2align	6
.LBB2_737:                              ;   in Loop: Header=BB2_735 Depth=3
	s_trap 2
	ds_read_b64 v[9:10], v0
	s_andn2_b32 s72, s72, exec_lo
	s_mov_b32 s63, 0
	s_waitcnt lgkmcnt(0)
	s_waitcnt_vscnt null, 0x0
	flat_load_dword v9, v[9:10] glc dlc
	s_waitcnt vmcnt(0) lgkmcnt(0)
	buffer_gl1_inv
	buffer_gl0_inv
	v_cmp_eq_u32_e32 vcc_lo, 0, v9
	s_and_b32 s73, vcc_lo, exec_lo
	s_or_b32 s72, s72, s73
	s_mov_b32 s74, -1
	s_or_b32 s62, s62, exec_lo
	s_and_saveexec_b32 s73, s72
	s_cbranch_execz .LBB2_734
.LBB2_738:                              ;   in Loop: Header=BB2_735 Depth=3
	s_sleep 1
	s_trap 2
	ds_read_b64 v[9:10], v0
	s_waitcnt lgkmcnt(0)
	buffer_gl0_inv
	s_andn2_b32 s62, s62, exec_lo
	v_cmp_ge_u64_e32 vcc_lo, v[9:10], v[12:13]
	s_orn2_b32 s74, vcc_lo, exec_lo
	s_branch .LBB2_734
.LBB2_739:                              ;   in Loop: Header=BB2_678 Depth=2
	s_inst_prefetch 0x2
	s_or_b32 exec_lo, exec_lo, s23
	s_and_saveexec_b32 s23, s61
	s_xor_b32 s23, exec_lo, s23
	s_cbranch_execz .LBB2_741
; %bb.740:                              ;   in Loop: Header=BB2_678 Depth=2
	ds_write_b32 v0, v84
	s_trap 2
.LBB2_741:                              ;   in Loop: Header=BB2_678 Depth=2
	s_or_b32 exec_lo, exec_lo, s22
	;;#ASMSTART
	s_wakeup
	;;#ASMEND
.LBB2_742:                              ;   in Loop: Header=BB2_678 Depth=2
	s_or_b32 exec_lo, exec_lo, s21
.LBB2_743:                              ;   in Loop: Header=BB2_678 Depth=2
	s_andn2_saveexec_b32 s19, s19
	s_cbranch_execz .LBB2_745
; %bb.744:                              ;   in Loop: Header=BB2_678 Depth=2
	;;#ASMSTART
	s_waitcnt lgkmcnt(0) vmcnt(0)
	;;#ASMEND
	s_barrier
.LBB2_745:                              ;   in Loop: Header=BB2_678 Depth=2
	s_or_b32 exec_lo, exec_lo, s19
.LBB2_746:                              ;   in Loop: Header=BB2_678 Depth=2
	s_or_b32 exec_lo, exec_lo, s16
	v_cmp_ne_u32_e32 vcc_lo, 0, v8
	s_xor_b32 s16, s7, -1
	s_and_b32 s19, vcc_lo, s16
	s_and_saveexec_b32 s16, s19
	s_cbranch_execz .LBB2_748
; %bb.747:                              ;   in Loop: Header=BB2_678 Depth=2
	s_waitcnt vmcnt(0) lgkmcnt(0)
	s_waitcnt_vscnt null, 0x0
	flat_store_dword v[24:25], v84
.LBB2_748:                              ;   in Loop: Header=BB2_678 Depth=2
	s_or_b32 exec_lo, exec_lo, s16
	v_and_b32_e32 v8, 48, v71
	s_mov_b32 s16, exec_lo
	v_cmpx_ne_u32_e32 0, v8
	s_cbranch_execz .LBB2_677
; %bb.749:                              ;   in Loop: Header=BB2_678 Depth=2
	v_add_co_u32 v38, vcc_lo, v38, 2
	v_add_co_ci_u32_e64 v39, null, 0, v39, vcc_lo
	s_waitcnt vmcnt(0) lgkmcnt(0)
	s_waitcnt_vscnt null, 0x0
	flat_store_dwordx2 v[20:21], v[38:39]
	s_branch .LBB2_677
.LBB2_750:                              ;   in Loop: Header=BB2_47 Depth=1
	s_or_b32 exec_lo, exec_lo, s18
.LBB2_751:                              ;   in Loop: Header=BB2_47 Depth=1
	s_or_b32 exec_lo, exec_lo, s17
	s_andn2_b32 vcc_lo, exec_lo, s46
	s_cbranch_vccnz .LBB2_1014
; %bb.752:                              ;   in Loop: Header=BB2_47 Depth=1
	s_mov_b32 s21, 1
.LBB2_753:                              ;   Parent Loop BB2_47 Depth=1
                                        ; =>  This Loop Header: Depth=2
                                        ;       Child Loop BB2_756 Depth 3
                                        ;         Child Loop BB2_764 Depth 4
                                        ;         Child Loop BB2_792 Depth 4
	;; [unrolled: 1-line block ×4, first 2 shown]
                                        ;           Child Loop BB2_835 Depth 5
                                        ;         Child Loop BB2_841 Depth 4
                                        ;           Child Loop BB2_842 Depth 5
                                        ;         Child Loop BB2_851 Depth 4
                                        ;         Child Loop BB2_856 Depth 4
                                        ;           Child Loop BB2_857 Depth 5
                                        ;         Child Loop BB2_869 Depth 4
                                        ;         Child Loop BB2_874 Depth 4
	;; [unrolled: 1-line block ×6, first 2 shown]
                                        ;       Child Loop BB2_939 Depth 3
                                        ;         Child Loop BB2_945 Depth 4
                                        ;         Child Loop BB2_973 Depth 4
	;; [unrolled: 1-line block ×3, first 2 shown]
	s_sub_i32 s16, s42, s21
	v_mov_b32_e32 v55, 0
	s_cmp_ge_i32 s16, s25
	s_mov_b32 s62, 0
	s_cselect_b32 s17, s25, 0
	s_sub_i32 s16, s16, s17
	s_ashr_i32 s17, s16, 31
	v_mul_lo_u32 v3, v37, s16
	v_mad_u64_u32 v[8:9], null, v36, s16, 0
	v_mul_lo_u32 v10, v36, s17
	v_add3_u32 v9, v9, v10, v3
	v_sub_co_u32 v10, vcc_lo, v48, v8
	v_sub_co_ci_u32_e64 v11, null, v49, v9, vcc_lo
	v_cmp_lt_i64_e32 vcc_lo, v[36:37], v[10:11]
	v_cndmask_b32_e32 v11, v10, v36, vcc_lo
	v_max_i32_e32 v3, 0, v11
	v_cmp_lt_i32_e32 vcc_lo, 0, v11
	v_add_nc_u32_e32 v10, 31, v3
	s_and_b32 s16, s57, vcc_lo
	v_lshrrev_b32_e32 v10, 1, v10
	v_and_b32_e32 v50, 0x3ffffff0, v10
	v_mov_b32_e32 v10, 0
	v_max_i32_e32 v50, s45, v50
	s_and_saveexec_b32 s61, s16
	s_cbranch_execz .LBB2_936
; %bb.754:                              ;   in Loop: Header=BB2_753 Depth=2
	v_add_co_u32 v68, vcc_lo, v8, v119
	v_add_co_ci_u32_e64 v69, null, v9, v40, vcc_lo
	v_mov_b32_e32 v55, 0
	s_mov_b32 s72, 1
	s_mov_b32 s63, -1
	s_branch .LBB2_756
.LBB2_755:                              ;   in Loop: Header=BB2_756 Depth=3
	s_or_b32 exec_lo, exec_lo, s16
	v_add_nc_u32_e32 v55, v50, v55
	s_xor_b32 s16, s63, -1
	v_mov_b32_e32 v10, s72
	s_mov_b32 s63, 0
	s_mov_b32 s72, 2
	v_cmp_ge_i32_e32 vcc_lo, v55, v3
	s_or_b32 s16, s16, vcc_lo
	s_and_b32 s16, exec_lo, s16
	s_or_b32 s62, s16, s62
	s_andn2_b32 exec_lo, exec_lo, s62
	s_cbranch_execz .LBB2_935
.LBB2_756:                              ;   Parent Loop BB2_47 Depth=1
                                        ;     Parent Loop BB2_753 Depth=2
                                        ; =>    This Loop Header: Depth=3
                                        ;         Child Loop BB2_764 Depth 4
                                        ;         Child Loop BB2_792 Depth 4
	;; [unrolled: 1-line block ×4, first 2 shown]
                                        ;           Child Loop BB2_835 Depth 5
                                        ;         Child Loop BB2_841 Depth 4
                                        ;           Child Loop BB2_842 Depth 5
                                        ;         Child Loop BB2_851 Depth 4
                                        ;         Child Loop BB2_856 Depth 4
                                        ;           Child Loop BB2_857 Depth 5
                                        ;         Child Loop BB2_869 Depth 4
                                        ;         Child Loop BB2_874 Depth 4
	;; [unrolled: 1-line block ×6, first 2 shown]
	s_and_saveexec_b32 s17, s4
	s_cbranch_execz .LBB2_758
; %bb.757:                              ;   in Loop: Header=BB2_756 Depth=3
	s_trap 2
	ds_read_b128 v[8:11], v0
	v_ashrrev_i32_e32 v51, 31, v55
	s_waitcnt lgkmcnt(0)
	v_add_co_u32 v52, vcc_lo, v10, v68
	v_add_co_ci_u32_e64 v53, null, v11, v69, vcc_lo
	v_add_co_u32 v8, vcc_lo, v8, v68
	v_add_co_ci_u32_e64 v9, null, v9, v69, vcc_lo
	;; [unrolled: 2-line block ×3, first 2 shown]
	v_cmp_ne_u64_e32 vcc_lo, 0, v[10:11]
	v_add_co_u32 v8, s16, v8, v55
	v_add_co_ci_u32_e64 v9, null, v9, v51, s16
	v_cndmask_b32_e32 v11, 0, v53, vcc_lo
	v_cndmask_b32_e32 v10, 0, v52, vcc_lo
	ds_write_b64 v0, v[8:9]
	ds_write_b64 v0, v[10:11]
.LBB2_758:                              ;   in Loop: Header=BB2_756 Depth=3
	s_or_b32 exec_lo, exec_lo, s17
	v_sub_nc_u32_e32 v8, v3, v55
	v_and_b32_e32 v9, 12, v71
	s_mov_b32 s17, exec_lo
	v_min_i32_e32 v50, v50, v8
	v_cmpx_ne_u32_e32 0, v9
	s_cbranch_execz .LBB2_784
; %bb.759:                              ;   in Loop: Header=BB2_756 Depth=3
	v_and_b32_e32 v53, 8, v71
	s_mov_b32 s18, exec_lo
	s_waitcnt vmcnt(0) lgkmcnt(1)
	v_add_co_u32 v10, vcc_lo, v26, v53
	v_add_co_ci_u32_e64 v11, null, 0, v27, vcc_lo
	v_add_co_u32 v8, vcc_lo, v38, 2
	v_add_co_ci_u32_e64 v9, null, 0, v39, vcc_lo
	v_cmpx_lt_u64_e64 v[10:11], v[8:9]
	s_cbranch_execz .LBB2_771
; %bb.760:                              ;   in Loop: Header=BB2_756 Depth=3
	v_and_b32_e32 v10, 64, v71
	s_mov_b32 s19, 0
	s_mov_b32 s74, 0
                                        ; implicit-def: $sgpr22
                                        ; implicit-def: $sgpr23
                                        ; implicit-def: $sgpr73
	v_cmp_eq_u32_e32 vcc_lo, 0, v10
	s_branch .LBB2_764
.LBB2_761:                              ;   in Loop: Header=BB2_764 Depth=4
	s_waitcnt vmcnt(0) lgkmcnt(0)
	v_add_co_u32 v51, s16, v26, v53
	v_add_co_ci_u32_e64 v52, null, 0, v27, s16
	s_or_b32 s77, s77, exec_lo
	v_cmp_ge_u64_e64 s16, v[51:52], v[8:9]
	s_orn2_b32 s76, s16, exec_lo
.LBB2_762:                              ;   in Loop: Header=BB2_764 Depth=4
	s_or_b32 exec_lo, exec_lo, s79
	s_andn2_b32 s16, s73, exec_lo
	s_and_b32 s73, s77, exec_lo
	s_andn2_b32 s23, s23, exec_lo
	s_and_b32 s76, s76, exec_lo
	s_or_b32 s73, s16, s73
	s_or_b32 s23, s23, s76
.LBB2_763:                              ;   in Loop: Header=BB2_764 Depth=4
	s_or_b32 exec_lo, exec_lo, s75
	s_and_b32 s16, exec_lo, s23
	s_or_b32 s19, s16, s19
	s_andn2_b32 s16, s22, exec_lo
	s_and_b32 s22, s73, exec_lo
	s_or_b32 s22, s16, s22
	s_andn2_b32 exec_lo, exec_lo, s19
	s_cbranch_execz .LBB2_768
.LBB2_764:                              ;   Parent Loop BB2_47 Depth=1
                                        ;     Parent Loop BB2_753 Depth=2
                                        ;       Parent Loop BB2_756 Depth=3
                                        ; =>      This Inner Loop Header: Depth=4
	s_sleep 1
	s_waitcnt vmcnt(0) lgkmcnt(0)
	flat_load_dwordx2 v[26:27], v[20:21] glc dlc
	s_or_b32 s73, s73, exec_lo
	s_or_b32 s23, s23, exec_lo
                                        ; implicit-def: $vgpr10
	s_and_saveexec_b32 s75, vcc_lo
	s_cbranch_execz .LBB2_763
; %bb.765:                              ;   in Loop: Header=BB2_764 Depth=4
	s_cmpk_lt_i32 s74, 0x270f
	s_mov_b32 s76, -1
	s_cselect_b32 s78, -1, 0
	s_cmpk_gt_i32 s74, 0x270e
	s_cbranch_scc0 .LBB2_767
; %bb.766:                              ;   in Loop: Header=BB2_764 Depth=4
	s_trap 2
	ds_read_b64 v[10:11], v0
	s_andn2_b32 s74, s78, exec_lo
	s_mov_b32 s77, 0
	s_waitcnt vmcnt(0) lgkmcnt(0)
	s_waitcnt_vscnt null, 0x0
	flat_load_dword v10, v[10:11] glc dlc
	s_waitcnt vmcnt(0) lgkmcnt(0)
	buffer_gl1_inv
	buffer_gl0_inv
	v_cmp_eq_u32_e64 s16, 0, v10
	s_and_b32 s16, s16, exec_lo
	s_or_b32 s78, s74, s16
	s_mov_b32 s74, 0
	s_and_saveexec_b32 s79, s78
	s_cbranch_execz .LBB2_762
	s_branch .LBB2_761
.LBB2_767:                              ;   in Loop: Header=BB2_764 Depth=4
	s_add_i32 s74, s74, 1
	s_mov_b32 s77, -1
                                        ; implicit-def: $vgpr10
	s_and_saveexec_b32 s79, s78
	s_cbranch_execz .LBB2_762
	s_branch .LBB2_761
.LBB2_768:                              ;   in Loop: Header=BB2_756 Depth=3
	s_or_b32 exec_lo, exec_lo, s19
	s_xor_b32 s16, s22, -1
	s_and_saveexec_b32 s19, s16
	s_xor_b32 s16, exec_lo, s19
	s_cbranch_execz .LBB2_770
; %bb.769:                              ;   in Loop: Header=BB2_756 Depth=3
	v_or_b32_e32 v71, 64, v71
	s_waitcnt vmcnt(0) lgkmcnt(0)
	s_waitcnt_vscnt null, 0x0
	ds_write_b32 v0, v10
	s_trap 2
.LBB2_770:                              ;   in Loop: Header=BB2_756 Depth=3
	s_or_b32 exec_lo, exec_lo, s16
.LBB2_771:                              ;   in Loop: Header=BB2_756 Depth=3
	s_or_b32 exec_lo, exec_lo, s18
	v_and_b32_e32 v10, 0x108, v71
	;;#ASMSTART
	s_wakeup
	;;#ASMEND
	v_cmp_ne_u32_e32 vcc_lo, 0x108, v10
                                        ; implicit-def: $vgpr10_vgpr11
	s_and_saveexec_b32 s16, vcc_lo
	s_xor_b32 s16, exec_lo, s16
; %bb.772:                              ;   in Loop: Header=BB2_756 Depth=3
	v_and_b32_e32 v10, 7, v38
	v_mov_b32_e32 v11, v2
                                        ; implicit-def: $vgpr38_vgpr39
; %bb.773:                              ;   in Loop: Header=BB2_756 Depth=3
	s_andn2_saveexec_b32 s16, s16
	s_cbranch_execz .LBB2_775
; %bb.774:                              ;   in Loop: Header=BB2_756 Depth=3
	v_and_b32_e32 v10, 7, v38
	v_ashrrev_i32_e32 v51, 31, v50
	v_mov_b32_e32 v11, v2
	v_mad_u64_u32 v[38:39], null, v10, 24, v[6:7]
	flat_store_dwordx2 v[38:39], v[50:51] offset:8
.LBB2_775:                              ;   in Loop: Header=BB2_756 Depth=3
	s_or_b32 exec_lo, exec_lo, s16
	v_and_b32_e32 v38, 0x100, v71
	s_mov_b32 s16, -1
	v_cmp_ne_u32_e32 vcc_lo, 0, v38
                                        ; implicit-def: $vgpr38_vgpr39
	s_and_saveexec_b32 s18, vcc_lo
	s_cbranch_execz .LBB2_779
; %bb.776:                              ;   in Loop: Header=BB2_756 Depth=3
	v_mad_u64_u32 v[51:52], null, v10, 24, v[6:7]
	v_mov_b32_e32 v38, v52
	v_mad_u64_u32 v[38:39], null, v11, 24, v[38:39]
	v_mov_b32_e32 v52, v38
	flat_load_dword v38, v[51:52]
	s_waitcnt vmcnt(0) lgkmcnt(0)
	v_cmp_eq_u32_e64 s16, 1, v38
	v_cmp_ne_u32_e32 vcc_lo, 1, v38
                                        ; implicit-def: $vgpr38_vgpr39
	s_and_saveexec_b32 s19, s16
	s_cbranch_execz .LBB2_778
; %bb.777:                              ;   in Loop: Header=BB2_756 Depth=3
	flat_load_dword v38, v[51:52] offset:4 glc dlc
	s_waitcnt vmcnt(0) lgkmcnt(0)
	v_ashrrev_i32_e32 v39, 31, v38
.LBB2_778:                              ;   in Loop: Header=BB2_756 Depth=3
	s_or_b32 exec_lo, exec_lo, s19
	s_orn2_b32 s16, vcc_lo, exec_lo
.LBB2_779:                              ;   in Loop: Header=BB2_756 Depth=3
	s_or_b32 exec_lo, exec_lo, s18
	s_and_saveexec_b32 s18, s16
; %bb.780:                              ;   in Loop: Header=BB2_756 Depth=3
	v_mul_lo_u32 v11, v11, v80
	v_mul_lo_u32 v51, v10, v30
	v_mad_u64_u32 v[38:39], null, v10, v80, 0
	v_add3_u32 v39, v39, v51, v11
; %bb.781:                              ;   in Loop: Header=BB2_756 Depth=3
	s_or_b32 exec_lo, exec_lo, s18
	v_cmp_eq_u32_e32 vcc_lo, 0, v53
	v_and_b32_e32 v52, 0x2000, v71
	s_mov_b32 s16, exec_lo
	v_cndmask_b32_e32 v51, 0xd0, v87, vcc_lo
	v_add_co_u32 v10, vcc_lo, v22, v38
	v_add_co_ci_u32_e64 v11, null, v23, v39, vcc_lo
	v_add_nc_u32_e32 v38, v0, v51
	ds_write_b64 v38, v[10:11] offset:584
	v_cmpx_ne_u32_e32 0, v52
	s_cbranch_execz .LBB2_783
; %bb.782:                              ;   in Loop: Header=BB2_756 Depth=3
	ds_read_b64 v[10:11], v0 offset:872
	s_waitcnt lgkmcnt(0)
	v_add_co_u32 v10, vcc_lo, v10, 1
	v_add_co_ci_u32_e64 v11, null, 0, v11, vcc_lo
	ds_write_b64 v0, v[10:11] offset:872
.LBB2_783:                              ;   in Loop: Header=BB2_756 Depth=3
	s_or_b32 exec_lo, exec_lo, s16
	v_mov_b32_e32 v39, v9
	v_mov_b32_e32 v38, v8
.LBB2_784:                              ;   in Loop: Header=BB2_756 Depth=3
	s_or_b32 exec_lo, exec_lo, s17
	s_and_saveexec_b32 s16, s6
	s_cbranch_execz .LBB2_803
; %bb.785:                              ;   in Loop: Header=BB2_756 Depth=3
	s_and_saveexec_b32 s17, s29
	s_xor_b32 s17, exec_lo, s17
	s_cbranch_execz .LBB2_800
; %bb.786:                              ;   in Loop: Header=BB2_756 Depth=3
	s_and_saveexec_b32 s18, s11
	s_cbranch_execz .LBB2_799
; %bb.787:                              ;   in Loop: Header=BB2_756 Depth=3
	s_mov_b32 s22, exec_lo
	s_mov_b32 s19, exec_lo
	v_mbcnt_lo_u32_b32 v8, s22, 0
	s_waitcnt vmcnt(0) lgkmcnt(0)
	s_waitcnt_vscnt null, 0x0
	buffer_gl1_inv
	buffer_gl0_inv
	v_cmpx_eq_u32_e32 0, v8
	s_cbranch_execz .LBB2_789
; %bb.788:                              ;   in Loop: Header=BB2_756 Depth=3
	s_bcnt1_i32_b32 s22, s22
	v_mov_b32_e32 v9, v2
	v_mov_b32_e32 v8, s22
	ds_add_u64 v0, v[8:9]
	s_trap 2
.LBB2_789:                              ;   in Loop: Header=BB2_756 Depth=3
	s_or_b32 exec_lo, exec_lo, s19
	s_trap 2
	ds_read_b64 v[8:9], v0
	s_waitcnt lgkmcnt(0)
	buffer_gl0_inv
	v_add_co_u32 v12, vcc_lo, v12, v81
	v_add_co_ci_u32_e64 v13, null, 0, v13, vcc_lo
	s_mov_b32 s19, exec_lo
	v_cmpx_lt_u64_e64 v[8:9], v[12:13]
	s_cbranch_execz .LBB2_798
; %bb.790:                              ;   in Loop: Header=BB2_756 Depth=3
	s_mov_b32 s22, 0
	s_mov_b32 s74, 0
                                        ; implicit-def: $sgpr23
                                        ; implicit-def: $sgpr73
	s_inst_prefetch 0x1
	s_branch .LBB2_792
	.p2align	6
.LBB2_791:                              ;   in Loop: Header=BB2_792 Depth=4
	s_or_b32 exec_lo, exec_lo, s76
	s_and_b32 s75, exec_lo, s77
	s_or_b32 s22, s75, s22
	s_andn2_b32 s23, s23, exec_lo
	s_and_b32 s75, s73, exec_lo
	s_or_b32 s23, s23, s75
	s_andn2_b32 exec_lo, exec_lo, s22
	s_cbranch_execz .LBB2_796
.LBB2_792:                              ;   Parent Loop BB2_47 Depth=1
                                        ;     Parent Loop BB2_753 Depth=2
                                        ;       Parent Loop BB2_756 Depth=3
                                        ; =>      This Inner Loop Header: Depth=4
	s_add_i32 s74, s74, 1
	s_cmpk_lg_i32 s74, 0x2710
	s_cselect_b32 s75, -1, 0
	s_and_b32 vcc_lo, exec_lo, s75
	s_cbranch_vccz .LBB2_794
; %bb.793:                              ;   in Loop: Header=BB2_792 Depth=4
	s_mov_b32 s77, -1
	s_or_b32 s73, s73, exec_lo
	s_and_saveexec_b32 s76, s75
	s_cbranch_execz .LBB2_791
	s_branch .LBB2_795
	.p2align	6
.LBB2_794:                              ;   in Loop: Header=BB2_792 Depth=4
	s_trap 2
	ds_read_b64 v[8:9], v0
	s_andn2_b32 s75, s75, exec_lo
	s_mov_b32 s74, 0
	s_waitcnt lgkmcnt(0)
	flat_load_dword v8, v[8:9] glc dlc
	s_waitcnt vmcnt(0) lgkmcnt(0)
	buffer_gl1_inv
	buffer_gl0_inv
	v_cmp_eq_u32_e32 vcc_lo, 0, v8
	s_and_b32 s76, vcc_lo, exec_lo
	s_or_b32 s75, s75, s76
	s_mov_b32 s77, -1
	s_or_b32 s73, s73, exec_lo
	s_and_saveexec_b32 s76, s75
	s_cbranch_execz .LBB2_791
.LBB2_795:                              ;   in Loop: Header=BB2_792 Depth=4
	s_sleep 1
	s_trap 2
	ds_read_b64 v[8:9], v0
	s_waitcnt lgkmcnt(0)
	buffer_gl0_inv
	s_andn2_b32 s73, s73, exec_lo
	v_cmp_ge_u64_e32 vcc_lo, v[8:9], v[12:13]
	s_orn2_b32 s77, vcc_lo, exec_lo
	s_branch .LBB2_791
.LBB2_796:                              ;   in Loop: Header=BB2_756 Depth=3
	s_inst_prefetch 0x2
	s_or_b32 exec_lo, exec_lo, s22
	s_and_saveexec_b32 s22, s23
	s_xor_b32 s22, exec_lo, s22
	s_cbranch_execz .LBB2_798
; %bb.797:                              ;   in Loop: Header=BB2_756 Depth=3
	ds_write_b32 v0, v84
	s_trap 2
.LBB2_798:                              ;   in Loop: Header=BB2_756 Depth=3
	s_or_b32 exec_lo, exec_lo, s19
	;;#ASMSTART
	s_wakeup
	;;#ASMEND
.LBB2_799:                              ;   in Loop: Header=BB2_756 Depth=3
	s_or_b32 exec_lo, exec_lo, s18
.LBB2_800:                              ;   in Loop: Header=BB2_756 Depth=3
	s_andn2_saveexec_b32 s17, s17
	s_cbranch_execz .LBB2_802
; %bb.801:                              ;   in Loop: Header=BB2_756 Depth=3
	s_waitcnt vmcnt(0) lgkmcnt(0)
	s_waitcnt_vscnt null, 0x0
	buffer_gl1_inv
	buffer_gl0_inv
	s_barrier
.LBB2_802:                              ;   in Loop: Header=BB2_756 Depth=3
	s_or_b32 exec_lo, exec_lo, s17
.LBB2_803:                              ;   in Loop: Header=BB2_756 Depth=3
	s_or_b32 exec_lo, exec_lo, s16
	s_trap 2
	ds_read_b32 v8, v0
	v_and_b32_e32 v9, 0x4000, v71
	s_xor_b32 s16, s5, -1
	v_cmp_ne_u32_e32 vcc_lo, 0, v9
	s_and_b32 s17, s16, vcc_lo
	s_and_saveexec_b32 s16, s17
	s_cbranch_execz .LBB2_822
; %bb.804:                              ;   in Loop: Header=BB2_756 Depth=3
	s_and_saveexec_b32 s17, s29
	s_xor_b32 s17, exec_lo, s17
	s_cbranch_execz .LBB2_819
; %bb.805:                              ;   in Loop: Header=BB2_756 Depth=3
	s_and_saveexec_b32 s18, s11
	s_cbranch_execz .LBB2_818
; %bb.806:                              ;   in Loop: Header=BB2_756 Depth=3
	s_mov_b32 s22, exec_lo
	s_mov_b32 s19, exec_lo
	v_mbcnt_lo_u32_b32 v9, s22, 0
	s_waitcnt vmcnt(0) lgkmcnt(0)
	s_waitcnt_vscnt null, 0x0
	buffer_gl1_inv
	buffer_gl0_inv
	v_cmpx_eq_u32_e32 0, v9
	s_cbranch_execz .LBB2_808
; %bb.807:                              ;   in Loop: Header=BB2_756 Depth=3
	s_bcnt1_i32_b32 s22, s22
	v_mov_b32_e32 v10, v2
	v_mov_b32_e32 v9, s22
	ds_add_u64 v0, v[9:10]
	s_trap 2
.LBB2_808:                              ;   in Loop: Header=BB2_756 Depth=3
	s_or_b32 exec_lo, exec_lo, s19
	s_trap 2
	ds_read_b64 v[9:10], v0
	s_waitcnt lgkmcnt(0)
	buffer_gl0_inv
	v_add_co_u32 v12, vcc_lo, v12, v81
	v_add_co_ci_u32_e64 v13, null, 0, v13, vcc_lo
	s_mov_b32 s19, exec_lo
	v_cmpx_lt_u64_e64 v[9:10], v[12:13]
	s_cbranch_execz .LBB2_817
; %bb.809:                              ;   in Loop: Header=BB2_756 Depth=3
	s_mov_b32 s22, 0
	s_mov_b32 s74, 0
                                        ; implicit-def: $sgpr23
                                        ; implicit-def: $sgpr73
	s_inst_prefetch 0x1
	s_branch .LBB2_811
	.p2align	6
.LBB2_810:                              ;   in Loop: Header=BB2_811 Depth=4
	s_or_b32 exec_lo, exec_lo, s76
	s_and_b32 s75, exec_lo, s77
	s_or_b32 s22, s75, s22
	s_andn2_b32 s23, s23, exec_lo
	s_and_b32 s75, s73, exec_lo
	s_or_b32 s23, s23, s75
	s_andn2_b32 exec_lo, exec_lo, s22
	s_cbranch_execz .LBB2_815
.LBB2_811:                              ;   Parent Loop BB2_47 Depth=1
                                        ;     Parent Loop BB2_753 Depth=2
                                        ;       Parent Loop BB2_756 Depth=3
                                        ; =>      This Inner Loop Header: Depth=4
	s_add_i32 s74, s74, 1
	s_cmpk_lg_i32 s74, 0x2710
	s_cselect_b32 s75, -1, 0
	s_and_b32 vcc_lo, exec_lo, s75
	s_cbranch_vccz .LBB2_813
; %bb.812:                              ;   in Loop: Header=BB2_811 Depth=4
	s_mov_b32 s77, -1
	s_or_b32 s73, s73, exec_lo
	s_and_saveexec_b32 s76, s75
	s_cbranch_execz .LBB2_810
	s_branch .LBB2_814
	.p2align	6
.LBB2_813:                              ;   in Loop: Header=BB2_811 Depth=4
	s_trap 2
	ds_read_b64 v[9:10], v0
	s_andn2_b32 s75, s75, exec_lo
	s_mov_b32 s74, 0
	s_waitcnt lgkmcnt(0)
	flat_load_dword v9, v[9:10] glc dlc
	s_waitcnt vmcnt(0) lgkmcnt(0)
	buffer_gl1_inv
	buffer_gl0_inv
	v_cmp_eq_u32_e32 vcc_lo, 0, v9
	s_and_b32 s76, vcc_lo, exec_lo
	s_or_b32 s75, s75, s76
	s_mov_b32 s77, -1
	s_or_b32 s73, s73, exec_lo
	s_and_saveexec_b32 s76, s75
	s_cbranch_execz .LBB2_810
.LBB2_814:                              ;   in Loop: Header=BB2_811 Depth=4
	s_sleep 1
	s_trap 2
	ds_read_b64 v[9:10], v0
	s_waitcnt lgkmcnt(0)
	buffer_gl0_inv
	s_andn2_b32 s73, s73, exec_lo
	v_cmp_ge_u64_e32 vcc_lo, v[9:10], v[12:13]
	s_orn2_b32 s77, vcc_lo, exec_lo
	s_branch .LBB2_810
.LBB2_815:                              ;   in Loop: Header=BB2_756 Depth=3
	s_inst_prefetch 0x2
	s_or_b32 exec_lo, exec_lo, s22
	s_and_saveexec_b32 s22, s23
	s_xor_b32 s22, exec_lo, s22
	s_cbranch_execz .LBB2_817
; %bb.816:                              ;   in Loop: Header=BB2_756 Depth=3
	ds_write_b32 v0, v84
	s_trap 2
.LBB2_817:                              ;   in Loop: Header=BB2_756 Depth=3
	s_or_b32 exec_lo, exec_lo, s19
	;;#ASMSTART
	s_wakeup
	;;#ASMEND
.LBB2_818:                              ;   in Loop: Header=BB2_756 Depth=3
	s_or_b32 exec_lo, exec_lo, s18
.LBB2_819:                              ;   in Loop: Header=BB2_756 Depth=3
	s_andn2_saveexec_b32 s17, s17
	s_cbranch_execz .LBB2_821
; %bb.820:                              ;   in Loop: Header=BB2_756 Depth=3
	s_waitcnt vmcnt(0) lgkmcnt(0)
	s_waitcnt_vscnt null, 0x0
	buffer_gl1_inv
	buffer_gl0_inv
	s_barrier
.LBB2_821:                              ;   in Loop: Header=BB2_756 Depth=3
	s_or_b32 exec_lo, exec_lo, s17
.LBB2_822:                              ;   in Loop: Header=BB2_756 Depth=3
	s_or_b32 exec_lo, exec_lo, s16
	s_trap 2
	ds_read_b64 v[51:52], v0
	s_waitcnt lgkmcnt(0)
	v_cmp_eq_u64_e32 vcc_lo, 0, v[51:52]
	s_cbranch_vccnz .LBB2_831
; %bb.823:                              ;   in Loop: Header=BB2_756 Depth=3
	s_trap 2
	ds_read_b64 v[53:54], v0
	s_waitcnt lgkmcnt(0)
	v_cmp_eq_u64_e32 vcc_lo, 0, v[53:54]
	s_cbranch_vccnz .LBB2_831
; %bb.824:                              ;   in Loop: Header=BB2_756 Depth=3
	s_trap 2
	ds_read_b64 v[64:65], v0
	v_cmp_eq_u32_e64 s16, 0, v8
	v_cndmask_b32_e64 v41, 0, v50, s16
	s_mov_b32 s16, -1
	s_waitcnt lgkmcnt(0)
	v_cmp_ne_u64_e32 vcc_lo, 0, v[64:65]
	s_cbranch_vccz .LBB2_860
; %bb.825:                              ;   in Loop: Header=BB2_756 Depth=3
	s_and_saveexec_b32 s17, s14
	s_cbranch_execz .LBB2_827
; %bb.826:                              ;   in Loop: Header=BB2_756 Depth=3
	ds_read_b32 v8, v0 offset:720
	s_waitcnt lgkmcnt(0)
	v_and_b32_e32 v8, 15, v8
	v_cmp_eq_u32_e32 vcc_lo, 0, v8
	s_orn2_b32 s16, vcc_lo, exec_lo
.LBB2_827:                              ;   in Loop: Header=BB2_756 Depth=3
	s_or_b32 exec_lo, exec_lo, s17
	s_and_saveexec_b32 s17, s15
	s_cbranch_execz .LBB2_829
; %bb.828:                              ;   in Loop: Header=BB2_756 Depth=3
	ds_read_b32 v8, v0 offset:784
	s_waitcnt lgkmcnt(0)
	v_and_b32_e32 v8, 15, v8
	v_cmp_eq_u32_e32 vcc_lo, 0, v8
	s_and_b32 s18, s16, vcc_lo
	s_andn2_b32 s16, s16, exec_lo
	s_and_b32 s18, s18, exec_lo
	s_or_b32 s16, s16, s18
.LBB2_829:                              ;   in Loop: Header=BB2_756 Depth=3
	s_or_b32 exec_lo, exec_lo, s17
	s_xor_b32 s16, s16, -1
	v_mov_b32_e32 v66, 0
	v_cndmask_b32_e64 v8, 0, 1, s16
	v_mov_b32_e32 v67, v41
	v_mov_b32_e32 v42, v0
	s_mov_b32 s17, -1
	v_cmp_ne_u32_e32 vcc_lo, 0, v8
	v_mov_b32_e32 v8, v103
	s_cbranch_vccz .LBB2_832
; %bb.830:                              ;   in Loop: Header=BB2_756 Depth=3
	s_and_saveexec_b32 s22, s17
	s_cbranch_execnz .LBB2_849
	s_branch .LBB2_859
.LBB2_831:                              ;   in Loop: Header=BB2_756 Depth=3
	s_mov_b32 s16, 0
	s_and_saveexec_b32 s17, s6
	s_cbranch_execnz .LBB2_890
	s_branch .LBB2_908
.LBB2_832:                              ;   in Loop: Header=BB2_756 Depth=3
	v_ashrrev_i32_e32 v8, 31, v41
	v_sub_nc_u32_e32 v42, v41, v83
	s_mov_b32 s19, exec_lo
	v_lshrrev_b32_e32 v8, 23, v8
	v_add_nc_u32_e32 v8, v41, v8
	v_and_b32_e32 v43, 0xfffffe00, v8
	v_ashrrev_i32_e32 v8, 9, v8
	v_sub_nc_u32_e32 v45, v41, v43
	v_cmp_lt_i32_e64 s16, 15, v45
	v_add_co_ci_u32_e64 v46, null, v8, v116, s16
	v_cmpx_lt_i32_e32 15, v42
	s_cbranch_execz .LBB2_838
; %bb.833:                              ;   in Loop: Header=BB2_756 Depth=3
	v_add_co_u32 v66, vcc_lo, v51, v83
	v_add_co_ci_u32_e64 v67, null, v52, v99, vcc_lo
	v_add_co_u32 v44, vcc_lo, v53, v83
	v_add_co_ci_u32_e64 v47, null, v54, v99, vcc_lo
	;; [unrolled: 2-line block ×3, first 2 shown]
	s_mov_b32 s73, 0
	s_inst_prefetch 0x1
	.p2align	6
.LBB2_834:                              ;   Parent Loop BB2_47 Depth=1
                                        ;     Parent Loop BB2_753 Depth=2
                                        ;       Parent Loop BB2_756 Depth=3
                                        ; =>      This Loop Header: Depth=4
                                        ;           Child Loop BB2_835 Depth 5
	global_load_dwordx4 v[8:11], v[66:67], off slc
	s_mov_b64 s[22:23], 0
	s_mov_b32 s74, -1
	.p2align	6
.LBB2_835:                              ;   Parent Loop BB2_47 Depth=1
                                        ;     Parent Loop BB2_753 Depth=2
                                        ;       Parent Loop BB2_756 Depth=3
                                        ;         Parent Loop BB2_834 Depth=4
                                        ; =>        This Inner Loop Header: Depth=5
	s_cmp_eq_u32 s22, 1
	s_cselect_b32 vcc_lo, -1, 0
	s_cmp_eq_u32 s22, 0
	v_cndmask_b32_e32 v58, v44, v56, vcc_lo
	v_cndmask_b32_e32 v59, v47, v57, vcc_lo
	s_mov_b64 s[22:23], 1
	v_add_co_u32 v60, s17, 0x200, v58
	v_add_co_ci_u32_e64 v61, null, 0, v59, s17
	s_cselect_b32 s17, -1, 0
	v_cndmask_b32_e32 v56, v56, v60, vcc_lo
	v_cndmask_b32_e64 v44, v44, v60, s17
	v_cndmask_b32_e32 v57, v57, v61, vcc_lo
	v_cndmask_b32_e64 v47, v47, v61, s17
	s_and_b32 s18, exec_lo, s74
	s_mov_b32 s74, 0
	s_mov_b32 vcc_lo, s18
	s_waitcnt vmcnt(0)
	global_store_dwordx4 v[58:59], v[8:11], off glc slc
	s_cbranch_vccnz .LBB2_835
; %bb.836:                              ;   in Loop: Header=BB2_834 Depth=4
	v_sub_nc_u32_e32 v42, v42, v97
	v_add_co_u32 v44, vcc_lo, v44, v101
	v_add_co_ci_u32_e64 v47, null, v47, v112, vcc_lo
	v_add_co_u32 v56, vcc_lo, v56, v101
	v_add_co_ci_u32_e64 v57, null, v57, v112, vcc_lo
	v_cmp_gt_i32_e32 vcc_lo, 16, v42
	v_add_co_u32 v66, s17, v117, v66
	v_add_co_ci_u32_e64 v67, null, v118, v67, s17
	v_sub_nc_u32_e32 v46, v46, v81
	s_or_b32 s73, vcc_lo, s73
	s_andn2_b32 exec_lo, exec_lo, s73
	s_cbranch_execnz .LBB2_834
; %bb.837:                              ;   in Loop: Header=BB2_756 Depth=3
	s_inst_prefetch 0x2
	s_or_b32 exec_lo, exec_lo, s73
.LBB2_838:                              ;   in Loop: Header=BB2_756 Depth=3
	s_or_b32 exec_lo, exec_lo, s19
	v_and_b32_e32 v9, 15, v41
	v_mov_b32_e32 v66, 0
	s_mov_b32 s17, 0
	s_mov_b32 s19, exec_lo
                                        ; implicit-def: $vgpr67
                                        ; implicit-def: $vgpr42
                                        ; implicit-def: $vgpr8
	v_cndmask_b32_e64 v44, v45, v9, s16
	v_cmpx_ne_u32_e32 0, v44
	s_cbranch_execz .LBB2_848
; %bb.839:                              ;   in Loop: Header=BB2_756 Depth=3
	v_cmp_lt_i32_e32 vcc_lo, 0, v46
	v_ashrrev_i32_e32 v11, 31, v44
	v_sub_nc_u32_e32 v9, v45, v9
	s_mov_b32 s73, exec_lo
	v_cndmask_b32_e32 v8, 0, v81, vcc_lo
	v_lshrrev_b32_e32 v11, 23, v11
	v_cndmask_b32_e64 v9, 0, v9, s16
	v_sub_nc_u32_e32 v8, v8, v46
	v_add_nc_u32_e32 v11, v44, v11
	v_add_nc_u32_e32 v43, v9, v43
	v_lshl_add_u32 v8, v8, 5, v115
	v_and_b32_e32 v46, 0xfffffe00, v11
	v_ashrrev_i32_e32 v11, 9, v11
	v_ashrrev_i32_e32 v10, 31, v8
	v_sub_nc_u32_e32 v45, v44, v46
	v_lshrrev_b32_e32 v10, 27, v10
	v_cmp_lt_i32_e64 s16, 15, v45
	v_add_nc_u32_e32 v10, v8, v10
	v_add_co_ci_u32_e64 v11, null, 0, v11, s16
	v_and_b32_e32 v66, 0xffffffe0, v10
	v_ashrrev_i32_e32 v10, 5, v10
	v_sub_nc_u32_e32 v47, v8, v66
	v_sub_nc_u32_e32 v56, v11, v10
	v_lshlrev_b32_e32 v8, 4, v47
	v_lshl_add_u32 v8, v10, 9, v8
	v_sub_nc_u32_e32 v42, v44, v8
	v_cmpx_lt_i32_e32 15, v42
	s_cbranch_execz .LBB2_845
; %bb.840:                              ;   in Loop: Header=BB2_756 Depth=3
	v_add_nc_u32_e32 v8, v8, v43
	s_mov_b32 s74, 0
	v_ashrrev_i32_e32 v9, 31, v8
	v_add_co_u32 v66, vcc_lo, v8, v51
	v_add_co_ci_u32_e64 v67, null, v9, v52, vcc_lo
	v_add_co_u32 v57, vcc_lo, v8, v53
	v_add_co_ci_u32_e64 v58, null, v9, v54, vcc_lo
	;; [unrolled: 2-line block ×3, first 2 shown]
	s_inst_prefetch 0x1
	.p2align	6
.LBB2_841:                              ;   Parent Loop BB2_47 Depth=1
                                        ;     Parent Loop BB2_753 Depth=2
                                        ;       Parent Loop BB2_756 Depth=3
                                        ; =>      This Loop Header: Depth=4
                                        ;           Child Loop BB2_842 Depth 5
	global_load_dwordx4 v[8:11], v[66:67], off slc
	s_mov_b64 s[22:23], 0
	s_mov_b32 s75, -1
	.p2align	6
.LBB2_842:                              ;   Parent Loop BB2_47 Depth=1
                                        ;     Parent Loop BB2_753 Depth=2
                                        ;       Parent Loop BB2_756 Depth=3
                                        ;         Parent Loop BB2_841 Depth=4
                                        ; =>        This Inner Loop Header: Depth=5
	s_cmp_eq_u32 s22, 1
	s_cselect_b32 vcc_lo, -1, 0
	s_cmp_eq_u32 s22, 0
	v_cndmask_b32_e32 v61, v57, v59, vcc_lo
	v_cndmask_b32_e32 v62, v58, v60, vcc_lo
	s_mov_b64 s[22:23], 1
	v_add_co_u32 v63, s17, 0x200, v61
	v_add_co_ci_u32_e64 v72, null, 0, v62, s17
	s_cselect_b32 s17, -1, 0
	v_cndmask_b32_e32 v59, v59, v63, vcc_lo
	v_cndmask_b32_e64 v57, v57, v63, s17
	v_cndmask_b32_e32 v60, v60, v72, vcc_lo
	v_cndmask_b32_e64 v58, v58, v72, s17
	s_and_b32 s18, exec_lo, s75
	s_mov_b32 s75, 0
	s_mov_b32 vcc_lo, s18
	s_waitcnt vmcnt(0)
	global_store_dwordx4 v[61:62], v[8:11], off glc slc
	s_cbranch_vccnz .LBB2_842
; %bb.843:                              ;   in Loop: Header=BB2_841 Depth=4
	v_sub_nc_u32_e32 v42, v42, v97
	v_add_co_u32 v57, vcc_lo, v57, v101
	v_add_co_ci_u32_e64 v58, null, v58, v112, vcc_lo
	v_add_co_u32 v59, vcc_lo, v59, v101
	v_add_co_ci_u32_e64 v60, null, v60, v112, vcc_lo
	v_cmp_gt_i32_e32 vcc_lo, 16, v42
	v_add_co_u32 v66, s17, v117, v66
	v_add_co_ci_u32_e64 v67, null, v118, v67, s17
	v_sub_nc_u32_e32 v56, v56, v81
	s_or_b32 s74, vcc_lo, s74
	s_andn2_b32 exec_lo, exec_lo, s74
	s_cbranch_execnz .LBB2_841
; %bb.844:                              ;   in Loop: Header=BB2_756 Depth=3
	s_inst_prefetch 0x2
	s_or_b32 exec_lo, exec_lo, s74
.LBB2_845:                              ;   in Loop: Header=BB2_756 Depth=3
	s_or_b32 exec_lo, exec_lo, s73
	v_and_b32_e32 v9, 15, v44
	v_mov_b32_e32 v66, 0
	s_mov_b32 s17, 0
	s_mov_b32 s18, exec_lo
                                        ; implicit-def: $vgpr42
                                        ; implicit-def: $vgpr8
	v_cndmask_b32_e64 v67, v45, v9, s16
	v_cmpx_ne_u32_e32 0, v67
	s_cbranch_execz .LBB2_847
; %bb.846:                              ;   in Loop: Header=BB2_756 Depth=3
	v_cmp_lt_i32_e32 vcc_lo, 0, v56
	v_sub_nc_u32_e32 v9, v45, v9
	s_mov_b32 s17, exec_lo
	v_cndmask_b32_e32 v8, 0, v81, vcc_lo
	v_cndmask_b32_e64 v9, 0, v9, s16
	v_sub_nc_u32_e32 v8, v8, v56
	v_add3_u32 v66, v46, v43, v9
	v_lshl_add_u32 v42, v8, 5, v47
	v_ashrrev_i32_e32 v8, 31, v42
	v_lshrrev_b32_e32 v8, 27, v8
	v_add_nc_u32_e32 v8, v42, v8
	v_ashrrev_i32_e32 v8, 5, v8
.LBB2_847:                              ;   in Loop: Header=BB2_756 Depth=3
	s_or_b32 exec_lo, exec_lo, s18
	s_and_b32 s17, s17, exec_lo
.LBB2_848:                              ;   in Loop: Header=BB2_756 Depth=3
	s_or_b32 exec_lo, exec_lo, s19
	s_and_saveexec_b32 s22, s17
	s_cbranch_execz .LBB2_859
.LBB2_849:                              ;   in Loop: Header=BB2_756 Depth=3
	v_ashrrev_i32_e32 v9, 31, v67
	s_mov_b32 s17, exec_lo
	v_add_nc_u32_sdwa v9, v67, v9 dst_sel:DWORD dst_unused:UNUSED_PAD src0_sel:DWORD src1_sel:BYTE_3
	v_ashrrev_i32_e32 v45, 8, v9
	v_ashrrev_i32_e32 v9, 31, v42
	v_sub_nc_u32_e32 v43, v45, v8
	v_lshrrev_b32_e32 v44, 27, v9
	v_cmpx_lt_i32_e32 0, v43
	s_cbranch_execz .LBB2_853
; %bb.850:                              ;   in Loop: Header=BB2_756 Depth=3
	v_add_nc_u32_e32 v9, v42, v44
	v_lshlrev_b32_e32 v8, 8, v8
	v_add_co_u32 v56, vcc_lo, 0xe0, v51
	v_add_co_ci_u32_e64 v57, null, 0, v52, vcc_lo
	v_and_b32_e32 v9, 0xffffffe0, v9
	s_mov_b32 s18, 0
	v_sub_nc_u32_e32 v9, v42, v9
	v_add3_u32 v46, v66, v9, v8
	v_ashrrev_i32_e32 v47, 31, v46
	v_add_co_u32 v8, vcc_lo, v46, v53
	v_add_co_ci_u32_e64 v9, null, v47, v54, vcc_lo
	v_add_co_u32 v10, vcc_lo, v46, v64
	v_add_co_ci_u32_e64 v11, null, v47, v65, vcc_lo
	;; [unrolled: 2-line block ×3, first 2 shown]
.LBB2_851:                              ;   Parent Loop BB2_47 Depth=1
                                        ;     Parent Loop BB2_753 Depth=2
                                        ;       Parent Loop BB2_756 Depth=3
                                        ; =>      This Inner Loop Header: Depth=4
	v_add_co_u32 v46, vcc_lo, 0xffffff20, v64
	v_add_co_ci_u32_e64 v47, null, -1, v65, vcc_lo
	v_add_co_u32 v56, vcc_lo, 0xffffff40, v64
	v_add_co_ci_u32_e64 v57, null, -1, v65, vcc_lo
	;; [unrolled: 2-line block ×7, first 2 shown]
	flat_load_ubyte v76, v[64:65] slc
	flat_load_ubyte v46, v[46:47] slc
	;; [unrolled: 1-line block ×8, first 2 shown]
	v_sub_nc_u32_e32 v43, v43, v81
	v_add_co_u32 v64, vcc_lo, v64, v98
	v_add_co_ci_u32_e64 v65, null, 0, v65, vcc_lo
	v_cmp_gt_i32_e32 vcc_lo, 1, v43
	s_waitcnt vmcnt(7) lgkmcnt(7)
	flat_store_byte v[8:9], v76 offset:224 glc slc
	s_waitcnt vmcnt(6) lgkmcnt(7)
	flat_store_byte v[8:9], v46 glc slc
	s_waitcnt vmcnt(5) lgkmcnt(7)
	flat_store_byte v[8:9], v47 offset:32 glc slc
	s_waitcnt vmcnt(4) lgkmcnt(7)
	flat_store_byte v[8:9], v56 offset:64 glc slc
	;; [unrolled: 2-line block ×6, first 2 shown]
	flat_store_byte v[10:11], v46 glc slc
	flat_store_byte v[10:11], v47 offset:32 glc slc
	flat_store_byte v[10:11], v56 offset:64 glc slc
	;; [unrolled: 1-line block ×7, first 2 shown]
	v_add_co_u32 v8, s16, v8, v98
	v_add_co_ci_u32_e64 v9, null, 0, v9, s16
	v_add_co_u32 v10, s16, v10, v98
	v_add_co_ci_u32_e64 v11, null, 0, v11, s16
	s_or_b32 s18, vcc_lo, s18
	s_andn2_b32 exec_lo, exec_lo, s18
	s_cbranch_execnz .LBB2_851
; %bb.852:                              ;   in Loop: Header=BB2_756 Depth=3
	s_or_b32 exec_lo, exec_lo, s18
.LBB2_853:                              ;   in Loop: Header=BB2_756 Depth=3
	s_or_b32 exec_lo, exec_lo, s17
	v_lshlrev_b32_e32 v8, 8, v45
	v_cmp_ne_u32_e32 vcc_lo, v67, v8
	s_and_b32 exec_lo, exec_lo, vcc_lo
	s_cbranch_execz .LBB2_859
; %bb.854:                              ;   in Loop: Header=BB2_756 Depth=3
	v_add_nc_u32_e32 v9, v42, v44
	v_lshlrev_b32_e32 v10, 5, v43
	v_and_b32_e32 v9, 0xffffffe0, v9
	v_sub_nc_u32_e32 v9, v42, v9
	v_sub_nc_u32_e32 v9, v9, v10
	v_add_nc_u32_e32 v8, v8, v9
	v_sub_nc_u32_e32 v10, v67, v8
	v_cmp_lt_i32_e32 vcc_lo, 0, v10
	s_and_b32 exec_lo, exec_lo, vcc_lo
	s_cbranch_execz .LBB2_859
; %bb.855:                              ;   in Loop: Header=BB2_756 Depth=3
	s_trap 2
	ds_read_b64 v[64:65], v0
	ds_read_b128 v[42:45], v0
	v_add_nc_u32_e32 v66, v8, v66
	s_mov_b32 s23, 0
	v_ashrrev_i32_e32 v67, 31, v66
	s_waitcnt lgkmcnt(1)
	v_add_co_u32 v8, vcc_lo, v64, v66
	v_add_co_ci_u32_e64 v9, null, v65, v67, vcc_lo
	s_waitcnt lgkmcnt(0)
	v_add_co_u32 v11, vcc_lo, v42, v66
	v_add_co_ci_u32_e64 v64, null, v43, v67, vcc_lo
	v_add_co_u32 v65, vcc_lo, v44, v66
	v_add_co_ci_u32_e64 v66, null, v45, v67, vcc_lo
	s_inst_prefetch 0x1
	.p2align	6
.LBB2_856:                              ;   Parent Loop BB2_47 Depth=1
                                        ;     Parent Loop BB2_753 Depth=2
                                        ;       Parent Loop BB2_756 Depth=3
                                        ; =>      This Loop Header: Depth=4
                                        ;           Child Loop BB2_857 Depth 5
	flat_load_ubyte v67, v[8:9] slc
	s_mov_b64 s[18:19], 0
	s_mov_b32 s73, -1
	.p2align	6
.LBB2_857:                              ;   Parent Loop BB2_47 Depth=1
                                        ;     Parent Loop BB2_753 Depth=2
                                        ;       Parent Loop BB2_756 Depth=3
                                        ;         Parent Loop BB2_856 Depth=4
                                        ; =>        This Inner Loop Header: Depth=5
	s_cmp_eq_u32 s18, 1
	s_cselect_b32 vcc_lo, -1, 0
	s_cmp_eq_u32 s18, 0
	v_cndmask_b32_e32 v42, v11, v65, vcc_lo
	v_cndmask_b32_e32 v43, v64, v66, vcc_lo
	s_mov_b64 s[18:19], 1
	v_add_co_u32 v44, s16, v42, 32
	v_add_co_ci_u32_e64 v45, null, 0, v43, s16
	s_cselect_b32 s16, -1, 0
	v_cndmask_b32_e32 v65, v65, v44, vcc_lo
	v_cndmask_b32_e64 v11, v11, v44, s16
	v_cndmask_b32_e32 v66, v66, v45, vcc_lo
	v_cndmask_b32_e64 v64, v64, v45, s16
	s_and_b32 s17, exec_lo, s73
	s_mov_b32 s73, 0
	s_mov_b32 vcc_lo, s17
	s_waitcnt vmcnt(0) lgkmcnt(0)
	flat_store_byte v[42:43], v67 glc slc
	s_cbranch_vccnz .LBB2_857
; %bb.858:                              ;   in Loop: Header=BB2_856 Depth=4
	v_sub_nc_u32_e32 v10, v10, v82
	v_add_co_u32 v11, vcc_lo, v11, v100
	v_add_co_ci_u32_e64 v64, null, v64, v102, vcc_lo
	v_add_co_u32 v65, vcc_lo, v65, v100
	v_add_co_ci_u32_e64 v66, null, v66, v102, vcc_lo
	v_cmp_gt_i32_e32 vcc_lo, 1, v10
	v_add_co_u32 v8, s16, v113, v8
	v_add_co_ci_u32_e64 v9, null, v114, v9, s16
	s_or_b32 s23, vcc_lo, s23
	s_andn2_b32 exec_lo, exec_lo, s23
	s_cbranch_execnz .LBB2_856
.LBB2_859:                              ;   in Loop: Header=BB2_756 Depth=3
	s_inst_prefetch 0x2
	s_or_b32 exec_lo, exec_lo, s22
	s_mov_b32 s16, 0
.LBB2_860:                              ;   in Loop: Header=BB2_756 Depth=3
	s_and_b32 vcc_lo, exec_lo, s16
	s_cbranch_vccz .LBB2_889
; %bb.861:                              ;   in Loop: Header=BB2_756 Depth=3
	s_mov_b32 s16, -1
	s_and_saveexec_b32 s17, s14
	s_cbranch_execz .LBB2_863
; %bb.862:                              ;   in Loop: Header=BB2_756 Depth=3
	ds_read_b32 v8, v0 offset:720
	s_waitcnt lgkmcnt(0)
	v_and_b32_e32 v8, 15, v8
	v_cmp_eq_u32_e32 vcc_lo, 0, v8
	s_orn2_b32 s16, vcc_lo, exec_lo
.LBB2_863:                              ;   in Loop: Header=BB2_756 Depth=3
	s_or_b32 exec_lo, exec_lo, s17
	s_and_saveexec_b32 s17, s13
	s_cbranch_execz .LBB2_865
; %bb.864:                              ;   in Loop: Header=BB2_756 Depth=3
	ds_read_b32 v8, v0 offset:784
	s_waitcnt lgkmcnt(0)
	v_and_b32_e32 v8, 15, v8
	v_cmp_eq_u32_e32 vcc_lo, 0, v8
	s_and_b32 s18, s16, vcc_lo
	s_andn2_b32 s16, s16, exec_lo
	s_and_b32 s18, s18, exec_lo
	s_or_b32 s16, s16, s18
.LBB2_865:                              ;   in Loop: Header=BB2_756 Depth=3
	s_or_b32 exec_lo, exec_lo, s17
	s_xor_b32 s16, s16, -1
	v_mov_b32_e32 v10, 0
	v_cndmask_b32_e64 v8, 0, 1, s16
	v_mov_b32_e32 v9, v0
	v_mov_b32_e32 v42, v103
	s_mov_b32 s16, -1
	v_cmp_ne_u32_e32 vcc_lo, 0, v8
	v_mov_b32_e32 v8, v41
	s_cbranch_vccz .LBB2_867
; %bb.866:                              ;   in Loop: Header=BB2_756 Depth=3
	s_and_saveexec_b32 s17, s16
	s_cbranch_execnz .LBB2_880
	s_branch .LBB2_888
.LBB2_867:                              ;   in Loop: Header=BB2_756 Depth=3
	v_ashrrev_i32_e32 v8, 31, v41
	s_mov_b32 s17, exec_lo
	v_lshrrev_b32_e32 v8, 22, v8
	v_add_nc_u32_e32 v8, v41, v8
	v_ashrrev_i32_e32 v10, 10, v8
	v_sub_nc_u32_e32 v64, v10, v103
	v_cmpx_lt_i32_e32 0, v64
	s_cbranch_execz .LBB2_871
; %bb.868:                              ;   in Loop: Header=BB2_756 Depth=3
	v_mov_b32_e32 v8, v34
	v_mov_b32_e32 v9, v35
	s_mov_b32 s18, 0
	.p2align	6
.LBB2_869:                              ;   Parent Loop BB2_47 Depth=1
                                        ;     Parent Loop BB2_753 Depth=2
                                        ;       Parent Loop BB2_756 Depth=3
                                        ; =>      This Inner Loop Header: Depth=4
	v_add_co_u32 v65, vcc_lo, v51, v8
	v_add_co_ci_u32_e64 v66, null, v52, v9, vcc_lo
	v_sub_nc_u32_e32 v64, v64, v81
	s_clause 0x1
	global_load_dwordx4 v[42:45], v[65:66], off slc
	global_load_dwordx4 v[56:59], v[65:66], off offset:512 slc
	v_add_co_u32 v65, vcc_lo, v53, v8
	v_add_co_ci_u32_e64 v66, null, v54, v9, vcc_lo
	v_cmp_gt_i32_e32 vcc_lo, 1, v64
	v_add_co_u32 v8, s16, v8, v96
	v_add_co_ci_u32_e64 v9, null, 0, v9, s16
	s_or_b32 s18, vcc_lo, s18
	s_waitcnt vmcnt(1)
	global_store_dwordx4 v[65:66], v[42:45], off glc slc
	s_waitcnt vmcnt(0)
	global_store_dwordx4 v[65:66], v[56:59], off offset:512 glc slc
	s_andn2_b32 exec_lo, exec_lo, s18
	s_cbranch_execnz .LBB2_869
; %bb.870:                              ;   in Loop: Header=BB2_756 Depth=3
	s_or_b32 exec_lo, exec_lo, s18
.LBB2_871:                              ;   in Loop: Header=BB2_756 Depth=3
	s_or_b32 exec_lo, exec_lo, s17
	v_lshlrev_b32_e32 v11, 10, v10
	v_mov_b32_e32 v10, 0
	s_mov_b32 s16, 0
	s_mov_b32 s18, exec_lo
                                        ; implicit-def: $vgpr8
                                        ; implicit-def: $vgpr9
                                        ; implicit-def: $vgpr42
	v_cmpx_ne_u32_e64 v41, v11
	s_cbranch_execz .LBB2_879
; %bb.872:                              ;   in Loop: Header=BB2_756 Depth=3
	v_lshlrev_b32_e32 v8, 5, v64
	v_sub_nc_u32_e32 v10, v41, v11
	s_mov_b32 s19, exec_lo
	v_sub_nc_u32_e32 v8, v115, v8
	v_ashrrev_i32_e32 v64, 31, v10
	v_ashrrev_i32_e32 v9, 31, v8
	v_lshrrev_b32_e32 v64, 23, v64
	v_lshrrev_b32_e32 v9, 27, v9
	v_add_nc_u32_e32 v67, v10, v64
	v_add_nc_u32_e32 v9, v8, v9
	v_and_b32_e32 v64, 0xfffffe00, v67
	v_ashrrev_i32_e32 v67, 9, v67
	v_and_b32_e32 v65, 0xffffffe0, v9
	v_sub_nc_u32_e32 v66, v10, v64
	v_ashrrev_i32_e32 v42, 5, v9
	v_sub_nc_u32_e32 v65, v8, v65
	v_cmp_lt_i32_e32 vcc_lo, 15, v66
	v_lshlrev_b32_e32 v8, 4, v65
	v_add_co_ci_u32_e64 v67, null, 0, v67, vcc_lo
	v_lshl_add_u32 v9, v42, 9, v8
	v_sub_nc_u32_e32 v67, v67, v42
	v_sub_nc_u32_e32 v8, v10, v9
	v_cmpx_lt_i32_e32 15, v8
	s_cbranch_execz .LBB2_876
; %bb.873:                              ;   in Loop: Header=BB2_756 Depth=3
	v_add_nc_u32_e32 v9, v9, v11
	s_mov_b32 s22, 0
	v_ashrrev_i32_e32 v10, 31, v9
	.p2align	6
.LBB2_874:                              ;   Parent Loop BB2_47 Depth=1
                                        ;     Parent Loop BB2_753 Depth=2
                                        ;       Parent Loop BB2_756 Depth=3
                                        ; =>      This Inner Loop Header: Depth=4
	v_add_co_u32 v42, s16, v51, v9
	v_add_co_ci_u32_e64 v43, null, v52, v10, s16
	v_sub_nc_u32_e32 v8, v8, v97
	v_add_co_u32 v46, s16, v53, v9
	global_load_dwordx4 v[42:45], v[42:43], off slc
	v_add_co_ci_u32_e64 v47, null, v54, v10, s16
	v_cmp_gt_i32_e64 s16, 16, v8
	v_add_co_u32 v9, s17, v9, v97
	v_sub_nc_u32_e32 v67, v67, v81
	v_add_co_ci_u32_e64 v10, null, 0, v10, s17
	s_or_b32 s22, s16, s22
	s_waitcnt vmcnt(0)
	global_store_dwordx4 v[46:47], v[42:45], off glc slc
	s_andn2_b32 exec_lo, exec_lo, s22
	s_cbranch_execnz .LBB2_874
; %bb.875:                              ;   in Loop: Header=BB2_756 Depth=3
	s_or_b32 exec_lo, exec_lo, s22
.LBB2_876:                              ;   in Loop: Header=BB2_756 Depth=3
	s_or_b32 exec_lo, exec_lo, s19
	v_and_b32_e32 v43, 15, v41
	v_mov_b32_e32 v10, 0
	s_mov_b32 s17, 0
	s_mov_b32 s19, exec_lo
                                        ; implicit-def: $vgpr9
                                        ; implicit-def: $vgpr42
	v_cndmask_b32_e32 v8, v66, v43, vcc_lo
	v_cmpx_ne_u32_e32 0, v8
	s_cbranch_execz .LBB2_878
; %bb.877:                              ;   in Loop: Header=BB2_756 Depth=3
	v_cmp_lt_i32_e64 s16, 0, v67
	s_mov_b32 s17, exec_lo
	v_cndmask_b32_e64 v9, 0, v81, s16
	v_sub_nc_u32_e32 v9, v9, v67
	v_lshl_add_u32 v9, v9, 5, v65
	v_sub_nc_u32_e32 v65, v66, v43
	v_ashrrev_i32_e32 v10, 31, v9
	v_cndmask_b32_e32 v65, 0, v65, vcc_lo
	v_lshrrev_b32_e32 v10, 27, v10
	v_add_nc_u32_e32 v66, v9, v10
	v_add3_u32 v10, v64, v11, v65
	v_ashrrev_i32_e32 v42, 5, v66
.LBB2_878:                              ;   in Loop: Header=BB2_756 Depth=3
	s_or_b32 exec_lo, exec_lo, s19
	s_and_b32 s16, s17, exec_lo
.LBB2_879:                              ;   in Loop: Header=BB2_756 Depth=3
	s_or_b32 exec_lo, exec_lo, s18
	s_and_saveexec_b32 s17, s16
	s_cbranch_execz .LBB2_888
.LBB2_880:                              ;   in Loop: Header=BB2_756 Depth=3
	v_ashrrev_i32_e32 v11, 31, v8
	v_ashrrev_i32_e32 v64, 31, v9
	s_mov_b32 s16, exec_lo
	v_add_nc_u32_sdwa v11, v8, v11 dst_sel:DWORD dst_unused:UNUSED_PAD src0_sel:DWORD src1_sel:BYTE_3
	v_lshrrev_b32_e32 v64, 27, v64
	v_ashrrev_i32_e32 v65, 8, v11
	v_sub_nc_u32_e32 v11, v65, v42
	v_cmpx_lt_i32_e32 0, v11
	s_cbranch_execz .LBB2_884
; %bb.881:                              ;   in Loop: Header=BB2_756 Depth=3
	v_add_nc_u32_e32 v66, v9, v64
	v_lshlrev_b32_e32 v67, 8, v42
	s_mov_b32 s18, 0
	v_and_b32_e32 v66, 0xffffffe0, v66
	v_sub_nc_u32_e32 v66, v9, v66
	v_add3_u32 v66, v10, v66, v67
	v_ashrrev_i32_e32 v67, 31, v66
.LBB2_882:                              ;   Parent Loop BB2_47 Depth=1
                                        ;     Parent Loop BB2_753 Depth=2
                                        ;       Parent Loop BB2_756 Depth=3
                                        ; =>      This Inner Loop Header: Depth=4
	v_add_co_u32 v42, vcc_lo, v66, v51
	v_add_co_ci_u32_e64 v43, null, v67, v52, vcc_lo
	v_sub_nc_u32_e32 v11, v11, v81
	s_clause 0x7
	flat_load_ubyte v44, v[42:43] slc
	flat_load_ubyte v45, v[42:43] offset:32 slc
	flat_load_ubyte v46, v[42:43] offset:64 slc
	;; [unrolled: 1-line block ×7, first 2 shown]
	v_add_co_u32 v42, vcc_lo, v66, v53
	v_add_co_ci_u32_e64 v43, null, v67, v54, vcc_lo
	v_add_co_u32 v51, vcc_lo, v51, v98
	v_add_co_ci_u32_e64 v52, null, 0, v52, vcc_lo
	v_add_co_u32 v53, vcc_lo, v53, v98
	v_add_co_ci_u32_e64 v54, null, 0, v54, vcc_lo
	v_cmp_gt_i32_e32 vcc_lo, 1, v11
	s_waitcnt vmcnt(7) lgkmcnt(7)
	flat_store_byte v[42:43], v44 glc slc
	s_waitcnt vmcnt(6) lgkmcnt(7)
	flat_store_byte v[42:43], v45 offset:32 glc slc
	s_waitcnt vmcnt(5) lgkmcnt(7)
	flat_store_byte v[42:43], v46 offset:64 glc slc
	;; [unrolled: 2-line block ×7, first 2 shown]
	s_or_b32 s18, vcc_lo, s18
	s_andn2_b32 exec_lo, exec_lo, s18
	s_cbranch_execnz .LBB2_882
; %bb.883:                              ;   in Loop: Header=BB2_756 Depth=3
	s_or_b32 exec_lo, exec_lo, s18
.LBB2_884:                              ;   in Loop: Header=BB2_756 Depth=3
	s_or_b32 exec_lo, exec_lo, s16
	v_lshlrev_b32_e32 v51, 8, v65
	v_cmp_ne_u32_e32 vcc_lo, v8, v51
	s_and_b32 exec_lo, exec_lo, vcc_lo
	s_cbranch_execz .LBB2_888
; %bb.885:                              ;   in Loop: Header=BB2_756 Depth=3
	v_add_nc_u32_e32 v52, v9, v64
	v_lshlrev_b32_e32 v11, 5, v11
	v_and_b32_e32 v52, 0xffffffe0, v52
	v_sub_nc_u32_e32 v9, v9, v52
	v_sub_nc_u32_e32 v9, v9, v11
	v_add_nc_u32_e32 v51, v51, v9
	v_sub_nc_u32_e32 v11, v8, v51
	v_cmp_lt_i32_e32 vcc_lo, 0, v11
	s_and_b32 exec_lo, exec_lo, vcc_lo
	s_cbranch_execz .LBB2_888
; %bb.886:                              ;   in Loop: Header=BB2_756 Depth=3
	s_trap 2
	ds_read_b64 v[8:9], v0
	v_add_nc_u32_e32 v10, v51, v10
	s_mov_b32 s18, 0
	v_ashrrev_i32_e32 v51, 31, v10
	.p2align	6
.LBB2_887:                              ;   Parent Loop BB2_47 Depth=1
                                        ;     Parent Loop BB2_753 Depth=2
                                        ;       Parent Loop BB2_756 Depth=3
                                        ; =>      This Inner Loop Header: Depth=4
	s_waitcnt lgkmcnt(0)
	v_add_co_u32 v52, vcc_lo, v8, v10
	v_add_co_ci_u32_e64 v53, null, v9, v51, vcc_lo
	v_sub_nc_u32_e32 v11, v11, v82
	v_add_co_u32 v10, s16, v10, v82
	flat_load_ubyte v54, v[52:53] slc
	v_add_co_ci_u32_e64 v51, null, 0, v51, s16
	v_cmp_gt_i32_e32 vcc_lo, 1, v11
	s_or_b32 s18, vcc_lo, s18
	s_waitcnt vmcnt(0) lgkmcnt(0)
	flat_store_byte v[52:53], v54 glc slc
	s_andn2_b32 exec_lo, exec_lo, s18
	s_cbranch_execnz .LBB2_887
.LBB2_888:                              ;   in Loop: Header=BB2_756 Depth=3
	s_or_b32 exec_lo, exec_lo, s17
.LBB2_889:                              ;   in Loop: Header=BB2_756 Depth=3
	v_cmp_lt_i32_e64 s16, 0, v41
	s_and_saveexec_b32 s17, s6
	s_cbranch_execz .LBB2_908
.LBB2_890:                              ;   in Loop: Header=BB2_756 Depth=3
	s_and_saveexec_b32 s18, s29
	s_xor_b32 s18, exec_lo, s18
	s_cbranch_execz .LBB2_905
; %bb.891:                              ;   in Loop: Header=BB2_756 Depth=3
	s_and_saveexec_b32 s19, s11
	s_cbranch_execz .LBB2_904
; %bb.892:                              ;   in Loop: Header=BB2_756 Depth=3
	s_mov_b32 s23, exec_lo
	s_mov_b32 s22, exec_lo
	v_mbcnt_lo_u32_b32 v8, s23, 0
	s_waitcnt vmcnt(0) lgkmcnt(0)
	s_waitcnt_vscnt null, 0x0
	buffer_gl1_inv
	buffer_gl0_inv
	v_cmpx_eq_u32_e32 0, v8
	s_cbranch_execz .LBB2_894
; %bb.893:                              ;   in Loop: Header=BB2_756 Depth=3
	s_bcnt1_i32_b32 s23, s23
	v_mov_b32_e32 v9, v2
	v_mov_b32_e32 v8, s23
	ds_add_u64 v0, v[8:9]
	s_trap 2
.LBB2_894:                              ;   in Loop: Header=BB2_756 Depth=3
	s_or_b32 exec_lo, exec_lo, s22
	s_trap 2
	ds_read_b64 v[8:9], v0
	s_waitcnt lgkmcnt(0)
	buffer_gl0_inv
	v_add_co_u32 v12, vcc_lo, v12, v81
	v_add_co_ci_u32_e64 v13, null, 0, v13, vcc_lo
	s_mov_b32 s22, exec_lo
	v_cmpx_lt_u64_e64 v[8:9], v[12:13]
	s_cbranch_execz .LBB2_903
; %bb.895:                              ;   in Loop: Header=BB2_756 Depth=3
	s_mov_b32 s23, 0
	s_mov_b32 s75, 0
                                        ; implicit-def: $sgpr73
                                        ; implicit-def: $sgpr74
	s_inst_prefetch 0x1
	s_branch .LBB2_897
	.p2align	6
.LBB2_896:                              ;   in Loop: Header=BB2_897 Depth=4
	s_or_b32 exec_lo, exec_lo, s77
	s_and_b32 s76, exec_lo, s78
	s_or_b32 s23, s76, s23
	s_andn2_b32 s73, s73, exec_lo
	s_and_b32 s76, s74, exec_lo
	s_or_b32 s73, s73, s76
	s_andn2_b32 exec_lo, exec_lo, s23
	s_cbranch_execz .LBB2_901
.LBB2_897:                              ;   Parent Loop BB2_47 Depth=1
                                        ;     Parent Loop BB2_753 Depth=2
                                        ;       Parent Loop BB2_756 Depth=3
                                        ; =>      This Inner Loop Header: Depth=4
	s_add_i32 s75, s75, 1
	s_cmpk_lg_i32 s75, 0x2710
	s_cselect_b32 s76, -1, 0
	s_and_b32 vcc_lo, exec_lo, s76
	s_cbranch_vccz .LBB2_899
; %bb.898:                              ;   in Loop: Header=BB2_897 Depth=4
	s_mov_b32 s78, -1
	s_or_b32 s74, s74, exec_lo
	s_and_saveexec_b32 s77, s76
	s_cbranch_execz .LBB2_896
	s_branch .LBB2_900
	.p2align	6
.LBB2_899:                              ;   in Loop: Header=BB2_897 Depth=4
	s_trap 2
	ds_read_b64 v[8:9], v0
	s_andn2_b32 s76, s76, exec_lo
	s_mov_b32 s75, 0
	s_waitcnt lgkmcnt(0)
	flat_load_dword v8, v[8:9] glc dlc
	s_waitcnt vmcnt(0) lgkmcnt(0)
	buffer_gl1_inv
	buffer_gl0_inv
	v_cmp_eq_u32_e32 vcc_lo, 0, v8
	s_and_b32 s77, vcc_lo, exec_lo
	s_or_b32 s76, s76, s77
	s_mov_b32 s78, -1
	s_or_b32 s74, s74, exec_lo
	s_and_saveexec_b32 s77, s76
	s_cbranch_execz .LBB2_896
.LBB2_900:                              ;   in Loop: Header=BB2_897 Depth=4
	s_sleep 1
	s_trap 2
	ds_read_b64 v[8:9], v0
	s_waitcnt lgkmcnt(0)
	buffer_gl0_inv
	s_andn2_b32 s74, s74, exec_lo
	v_cmp_ge_u64_e32 vcc_lo, v[8:9], v[12:13]
	s_orn2_b32 s78, vcc_lo, exec_lo
	s_branch .LBB2_896
.LBB2_901:                              ;   in Loop: Header=BB2_756 Depth=3
	s_inst_prefetch 0x2
	s_or_b32 exec_lo, exec_lo, s23
	s_and_saveexec_b32 s23, s73
	s_xor_b32 s23, exec_lo, s23
	s_cbranch_execz .LBB2_903
; %bb.902:                              ;   in Loop: Header=BB2_756 Depth=3
	ds_write_b32 v0, v84
	s_trap 2
.LBB2_903:                              ;   in Loop: Header=BB2_756 Depth=3
	s_or_b32 exec_lo, exec_lo, s22
	;;#ASMSTART
	s_wakeup
	;;#ASMEND
.LBB2_904:                              ;   in Loop: Header=BB2_756 Depth=3
	s_or_b32 exec_lo, exec_lo, s19
.LBB2_905:                              ;   in Loop: Header=BB2_756 Depth=3
	s_andn2_saveexec_b32 s18, s18
	s_cbranch_execz .LBB2_907
; %bb.906:                              ;   in Loop: Header=BB2_756 Depth=3
	s_waitcnt vmcnt(0) lgkmcnt(0)
	s_waitcnt_vscnt null, 0x0
	buffer_gl1_inv
	buffer_gl0_inv
	s_barrier
.LBB2_907:                              ;   in Loop: Header=BB2_756 Depth=3
	s_or_b32 exec_lo, exec_lo, s18
.LBB2_908:                              ;   in Loop: Header=BB2_756 Depth=3
	s_or_b32 exec_lo, exec_lo, s17
	v_and_b32_e32 v8, 16, v71
	s_and_saveexec_b32 s17, s12
	s_xor_b32 s17, exec_lo, s17
	s_cbranch_execz .LBB2_912
; %bb.909:                              ;   in Loop: Header=BB2_756 Depth=3
	v_and_b32_e32 v8, 16, v71
	v_cmp_ne_u32_e32 vcc_lo, 0, v8
	v_and_b32_e32 v8, 16, v71
	s_and_b32 s18, vcc_lo, s16
	s_and_saveexec_b32 s16, s18
	s_cbranch_execz .LBB2_911
; %bb.910:                              ;   in Loop: Header=BB2_756 Depth=3
	v_mov_b32_e32 v8, 1
	s_waitcnt vmcnt(0) lgkmcnt(0)
	s_waitcnt_vscnt null, 0x0
	buffer_gl1_inv
	buffer_gl0_inv
.LBB2_911:                              ;   in Loop: Header=BB2_756 Depth=3
	s_or_b32 exec_lo, exec_lo, s16
.LBB2_912:                              ;   in Loop: Header=BB2_756 Depth=3
	s_andn2_saveexec_b32 s16, s17
	s_cbranch_execz .LBB2_931
; %bb.913:                              ;   in Loop: Header=BB2_756 Depth=3
	s_and_saveexec_b32 s17, s29
	s_xor_b32 s17, exec_lo, s17
	s_cbranch_execz .LBB2_928
; %bb.914:                              ;   in Loop: Header=BB2_756 Depth=3
	s_and_saveexec_b32 s18, s11
	s_cbranch_execz .LBB2_927
; %bb.915:                              ;   in Loop: Header=BB2_756 Depth=3
	s_mov_b32 s22, exec_lo
	s_mov_b32 s19, exec_lo
	v_mbcnt_lo_u32_b32 v9, s22, 0
	;;#ASMSTART
	s_waitcnt lgkmcnt(0) vmcnt(0)
	;;#ASMEND
	v_cmpx_eq_u32_e32 0, v9
	s_cbranch_execz .LBB2_917
; %bb.916:                              ;   in Loop: Header=BB2_756 Depth=3
	s_bcnt1_i32_b32 s22, s22
	v_mov_b32_e32 v10, v2
	v_mov_b32_e32 v9, s22
	s_waitcnt vmcnt(0) lgkmcnt(0)
	s_waitcnt_vscnt null, 0x0
	ds_add_u64 v0, v[9:10]
	s_trap 2
.LBB2_917:                              ;   in Loop: Header=BB2_756 Depth=3
	s_or_b32 exec_lo, exec_lo, s19
	s_trap 2
	ds_read_b64 v[9:10], v0
	s_waitcnt vmcnt(0) lgkmcnt(0)
	buffer_gl0_inv
	v_add_co_u32 v12, vcc_lo, v12, v81
	v_add_co_ci_u32_e64 v13, null, 0, v13, vcc_lo
	s_mov_b32 s19, exec_lo
	v_cmpx_lt_u64_e64 v[9:10], v[12:13]
	s_cbranch_execz .LBB2_926
; %bb.918:                              ;   in Loop: Header=BB2_756 Depth=3
	s_mov_b32 s22, 0
	s_mov_b32 s74, 0
                                        ; implicit-def: $sgpr23
                                        ; implicit-def: $sgpr73
	s_inst_prefetch 0x1
	s_branch .LBB2_920
	.p2align	6
.LBB2_919:                              ;   in Loop: Header=BB2_920 Depth=4
	s_or_b32 exec_lo, exec_lo, s76
	s_and_b32 s75, exec_lo, s77
	s_or_b32 s22, s75, s22
	s_andn2_b32 s23, s23, exec_lo
	s_and_b32 s75, s73, exec_lo
	s_or_b32 s23, s23, s75
	s_andn2_b32 exec_lo, exec_lo, s22
	s_cbranch_execz .LBB2_924
.LBB2_920:                              ;   Parent Loop BB2_47 Depth=1
                                        ;     Parent Loop BB2_753 Depth=2
                                        ;       Parent Loop BB2_756 Depth=3
                                        ; =>      This Inner Loop Header: Depth=4
	s_add_i32 s74, s74, 1
	s_cmpk_lg_i32 s74, 0x2710
	s_cselect_b32 s75, -1, 0
	s_and_b32 vcc_lo, exec_lo, s75
	s_cbranch_vccz .LBB2_922
; %bb.921:                              ;   in Loop: Header=BB2_920 Depth=4
	s_mov_b32 s77, -1
	s_or_b32 s73, s73, exec_lo
	s_and_saveexec_b32 s76, s75
	s_cbranch_execz .LBB2_919
	s_branch .LBB2_923
	.p2align	6
.LBB2_922:                              ;   in Loop: Header=BB2_920 Depth=4
	s_trap 2
	ds_read_b64 v[9:10], v0
	s_andn2_b32 s75, s75, exec_lo
	s_mov_b32 s74, 0
	s_waitcnt lgkmcnt(0)
	s_waitcnt_vscnt null, 0x0
	flat_load_dword v9, v[9:10] glc dlc
	s_waitcnt vmcnt(0) lgkmcnt(0)
	buffer_gl1_inv
	buffer_gl0_inv
	v_cmp_eq_u32_e32 vcc_lo, 0, v9
	s_and_b32 s76, vcc_lo, exec_lo
	s_or_b32 s75, s75, s76
	s_mov_b32 s77, -1
	s_or_b32 s73, s73, exec_lo
	s_and_saveexec_b32 s76, s75
	s_cbranch_execz .LBB2_919
.LBB2_923:                              ;   in Loop: Header=BB2_920 Depth=4
	s_sleep 1
	s_trap 2
	ds_read_b64 v[9:10], v0
	s_waitcnt lgkmcnt(0)
	buffer_gl0_inv
	s_andn2_b32 s73, s73, exec_lo
	v_cmp_ge_u64_e32 vcc_lo, v[9:10], v[12:13]
	s_orn2_b32 s77, vcc_lo, exec_lo
	s_branch .LBB2_919
.LBB2_924:                              ;   in Loop: Header=BB2_756 Depth=3
	s_inst_prefetch 0x2
	s_or_b32 exec_lo, exec_lo, s22
	s_and_saveexec_b32 s22, s23
	s_xor_b32 s22, exec_lo, s22
	s_cbranch_execz .LBB2_926
; %bb.925:                              ;   in Loop: Header=BB2_756 Depth=3
	ds_write_b32 v0, v84
	s_trap 2
.LBB2_926:                              ;   in Loop: Header=BB2_756 Depth=3
	s_or_b32 exec_lo, exec_lo, s19
	;;#ASMSTART
	s_wakeup
	;;#ASMEND
.LBB2_927:                              ;   in Loop: Header=BB2_756 Depth=3
	s_or_b32 exec_lo, exec_lo, s18
.LBB2_928:                              ;   in Loop: Header=BB2_756 Depth=3
	s_andn2_saveexec_b32 s17, s17
	s_cbranch_execz .LBB2_930
; %bb.929:                              ;   in Loop: Header=BB2_756 Depth=3
	;;#ASMSTART
	s_waitcnt lgkmcnt(0) vmcnt(0)
	;;#ASMEND
	s_barrier
.LBB2_930:                              ;   in Loop: Header=BB2_756 Depth=3
	s_or_b32 exec_lo, exec_lo, s17
.LBB2_931:                              ;   in Loop: Header=BB2_756 Depth=3
	s_or_b32 exec_lo, exec_lo, s16
	v_cmp_ne_u32_e32 vcc_lo, 0, v8
	s_xor_b32 s16, s7, -1
	s_and_b32 s17, vcc_lo, s16
	s_and_saveexec_b32 s16, s17
	s_cbranch_execz .LBB2_933
; %bb.932:                              ;   in Loop: Header=BB2_756 Depth=3
	s_waitcnt vmcnt(0) lgkmcnt(0)
	s_waitcnt_vscnt null, 0x0
	flat_store_dword v[24:25], v84
.LBB2_933:                              ;   in Loop: Header=BB2_756 Depth=3
	s_or_b32 exec_lo, exec_lo, s16
	v_and_b32_e32 v8, 48, v71
	s_mov_b32 s16, exec_lo
	v_cmpx_ne_u32_e32 0, v8
	s_cbranch_execz .LBB2_755
; %bb.934:                              ;   in Loop: Header=BB2_756 Depth=3
	v_add_co_u32 v38, vcc_lo, v38, 2
	v_add_co_ci_u32_e64 v39, null, 0, v39, vcc_lo
	s_waitcnt vmcnt(0) lgkmcnt(0)
	s_waitcnt_vscnt null, 0x0
	flat_store_dwordx2 v[20:21], v[38:39]
	s_branch .LBB2_755
.LBB2_935:                              ;   in Loop: Header=BB2_753 Depth=2
	s_or_b32 exec_lo, exec_lo, s62
.LBB2_936:                              ;   in Loop: Header=BB2_753 Depth=2
	s_or_b32 exec_lo, exec_lo, s61
	s_mov_b32 s17, exec_lo
	v_cmpx_gt_i32_e32 2, v10
	s_cbranch_execz .LBB2_1012
; %bb.937:                              ;   in Loop: Header=BB2_753 Depth=2
	v_cmp_eq_u32_e64 s19, 0, v10
	s_mov_b32 s18, 0
	s_branch .LBB2_939
.LBB2_938:                              ;   in Loop: Header=BB2_939 Depth=3
	s_or_b32 exec_lo, exec_lo, s16
	v_add_nc_u32_e32 v55, v50, v55
	s_mov_b32 s19, 0
	s_andn2_b32 exec_lo, exec_lo, s18
	s_cbranch_execz .LBB2_1011
.LBB2_939:                              ;   Parent Loop BB2_47 Depth=1
                                        ;     Parent Loop BB2_753 Depth=2
                                        ; =>    This Loop Header: Depth=3
                                        ;         Child Loop BB2_945 Depth 4
                                        ;         Child Loop BB2_973 Depth 4
	;; [unrolled: 1-line block ×3, first 2 shown]
	v_sub_nc_u32_e32 v8, v3, v55
	v_and_b32_e32 v9, 12, v71
	s_mov_b32 s22, exec_lo
	v_min_i32_e32 v50, v50, v8
	v_cmpx_ne_u32_e32 0, v9
	s_cbranch_execz .LBB2_965
; %bb.940:                              ;   in Loop: Header=BB2_939 Depth=3
	v_and_b32_e32 v53, 8, v71
	s_mov_b32 s23, exec_lo
	s_waitcnt vmcnt(0) lgkmcnt(1)
	v_add_co_u32 v10, vcc_lo, v26, v53
	v_add_co_ci_u32_e64 v11, null, 0, v27, vcc_lo
	v_add_co_u32 v8, vcc_lo, v38, 2
	v_add_co_ci_u32_e64 v9, null, 0, v39, vcc_lo
	v_cmpx_lt_u64_e64 v[10:11], v[8:9]
	s_cbranch_execz .LBB2_952
; %bb.941:                              ;   in Loop: Header=BB2_939 Depth=3
	v_and_b32_e32 v10, 64, v71
	s_mov_b32 s61, 0
	s_mov_b32 s73, 0
                                        ; implicit-def: $sgpr62
                                        ; implicit-def: $sgpr63
                                        ; implicit-def: $sgpr72
	v_cmp_eq_u32_e32 vcc_lo, 0, v10
	s_branch .LBB2_945
.LBB2_942:                              ;   in Loop: Header=BB2_945 Depth=4
	s_waitcnt vmcnt(0) lgkmcnt(0)
	v_add_co_u32 v51, s16, v26, v53
	v_add_co_ci_u32_e64 v52, null, 0, v27, s16
	s_or_b32 s76, s76, exec_lo
	v_cmp_ge_u64_e64 s16, v[51:52], v[8:9]
	s_orn2_b32 s75, s16, exec_lo
.LBB2_943:                              ;   in Loop: Header=BB2_945 Depth=4
	s_or_b32 exec_lo, exec_lo, s78
	s_andn2_b32 s16, s72, exec_lo
	s_and_b32 s72, s76, exec_lo
	s_andn2_b32 s63, s63, exec_lo
	s_and_b32 s75, s75, exec_lo
	s_or_b32 s72, s16, s72
	s_or_b32 s63, s63, s75
.LBB2_944:                              ;   in Loop: Header=BB2_945 Depth=4
	s_or_b32 exec_lo, exec_lo, s74
	s_and_b32 s16, exec_lo, s63
	s_or_b32 s61, s16, s61
	s_andn2_b32 s16, s62, exec_lo
	s_and_b32 s62, s72, exec_lo
	s_or_b32 s62, s16, s62
	s_andn2_b32 exec_lo, exec_lo, s61
	s_cbranch_execz .LBB2_949
.LBB2_945:                              ;   Parent Loop BB2_47 Depth=1
                                        ;     Parent Loop BB2_753 Depth=2
                                        ;       Parent Loop BB2_939 Depth=3
                                        ; =>      This Inner Loop Header: Depth=4
	s_sleep 1
	s_waitcnt vmcnt(0) lgkmcnt(0)
	flat_load_dwordx2 v[26:27], v[20:21] glc dlc
	s_or_b32 s72, s72, exec_lo
	s_or_b32 s63, s63, exec_lo
                                        ; implicit-def: $vgpr10
	s_and_saveexec_b32 s74, vcc_lo
	s_cbranch_execz .LBB2_944
; %bb.946:                              ;   in Loop: Header=BB2_945 Depth=4
	s_cmpk_lt_i32 s73, 0x270f
	s_mov_b32 s75, -1
	s_cselect_b32 s77, -1, 0
	s_cmpk_gt_i32 s73, 0x270e
	s_cbranch_scc0 .LBB2_948
; %bb.947:                              ;   in Loop: Header=BB2_945 Depth=4
	s_trap 2
	ds_read_b64 v[10:11], v0
	s_andn2_b32 s73, s77, exec_lo
	s_mov_b32 s76, 0
	s_waitcnt vmcnt(0) lgkmcnt(0)
	s_waitcnt_vscnt null, 0x0
	flat_load_dword v10, v[10:11] glc dlc
	s_waitcnt vmcnt(0) lgkmcnt(0)
	buffer_gl1_inv
	buffer_gl0_inv
	v_cmp_eq_u32_e64 s16, 0, v10
	s_and_b32 s16, s16, exec_lo
	s_or_b32 s77, s73, s16
	s_mov_b32 s73, 0
	s_and_saveexec_b32 s78, s77
	s_cbranch_execz .LBB2_943
	s_branch .LBB2_942
.LBB2_948:                              ;   in Loop: Header=BB2_945 Depth=4
	s_add_i32 s73, s73, 1
	s_mov_b32 s76, -1
                                        ; implicit-def: $vgpr10
	s_and_saveexec_b32 s78, s77
	s_cbranch_execz .LBB2_943
	s_branch .LBB2_942
.LBB2_949:                              ;   in Loop: Header=BB2_939 Depth=3
	s_or_b32 exec_lo, exec_lo, s61
	s_xor_b32 s16, s62, -1
	s_and_saveexec_b32 s61, s16
	s_xor_b32 s16, exec_lo, s61
	s_cbranch_execz .LBB2_951
; %bb.950:                              ;   in Loop: Header=BB2_939 Depth=3
	v_or_b32_e32 v71, 64, v71
	s_waitcnt vmcnt(0) lgkmcnt(0)
	s_waitcnt_vscnt null, 0x0
	ds_write_b32 v0, v10
	s_trap 2
.LBB2_951:                              ;   in Loop: Header=BB2_939 Depth=3
	s_or_b32 exec_lo, exec_lo, s16
.LBB2_952:                              ;   in Loop: Header=BB2_939 Depth=3
	s_or_b32 exec_lo, exec_lo, s23
	v_and_b32_e32 v10, 0x108, v71
	;;#ASMSTART
	s_wakeup
	;;#ASMEND
	v_cmp_ne_u32_e32 vcc_lo, 0x108, v10
                                        ; implicit-def: $vgpr10_vgpr11
	s_and_saveexec_b32 s16, vcc_lo
	s_xor_b32 s16, exec_lo, s16
; %bb.953:                              ;   in Loop: Header=BB2_939 Depth=3
	v_and_b32_e32 v10, 7, v38
	v_mov_b32_e32 v11, v2
                                        ; implicit-def: $vgpr38_vgpr39
; %bb.954:                              ;   in Loop: Header=BB2_939 Depth=3
	s_andn2_saveexec_b32 s16, s16
	s_cbranch_execz .LBB2_956
; %bb.955:                              ;   in Loop: Header=BB2_939 Depth=3
	v_and_b32_e32 v10, 7, v38
	v_ashrrev_i32_e32 v51, 31, v50
	v_mov_b32_e32 v11, v2
	v_mad_u64_u32 v[38:39], null, v10, 24, v[6:7]
	flat_store_dwordx2 v[38:39], v[50:51] offset:8
.LBB2_956:                              ;   in Loop: Header=BB2_939 Depth=3
	s_or_b32 exec_lo, exec_lo, s16
	v_and_b32_e32 v38, 0x100, v71
	s_mov_b32 s16, -1
	v_cmp_ne_u32_e32 vcc_lo, 0, v38
                                        ; implicit-def: $vgpr38_vgpr39
	s_and_saveexec_b32 s23, vcc_lo
	s_cbranch_execz .LBB2_960
; %bb.957:                              ;   in Loop: Header=BB2_939 Depth=3
	v_mad_u64_u32 v[51:52], null, v10, 24, v[6:7]
	v_mov_b32_e32 v38, v52
	v_mad_u64_u32 v[38:39], null, v11, 24, v[38:39]
	v_mov_b32_e32 v52, v38
	flat_load_dword v38, v[51:52]
	s_waitcnt vmcnt(0) lgkmcnt(0)
	v_cmp_eq_u32_e64 s16, 1, v38
	v_cmp_ne_u32_e32 vcc_lo, 1, v38
                                        ; implicit-def: $vgpr38_vgpr39
	s_and_saveexec_b32 s61, s16
	s_cbranch_execz .LBB2_959
; %bb.958:                              ;   in Loop: Header=BB2_939 Depth=3
	flat_load_dword v38, v[51:52] offset:4 glc dlc
	s_waitcnt vmcnt(0) lgkmcnt(0)
	v_ashrrev_i32_e32 v39, 31, v38
.LBB2_959:                              ;   in Loop: Header=BB2_939 Depth=3
	s_or_b32 exec_lo, exec_lo, s61
	s_orn2_b32 s16, vcc_lo, exec_lo
.LBB2_960:                              ;   in Loop: Header=BB2_939 Depth=3
	s_or_b32 exec_lo, exec_lo, s23
	s_and_saveexec_b32 s23, s16
; %bb.961:                              ;   in Loop: Header=BB2_939 Depth=3
	v_mul_lo_u32 v11, v11, v80
	v_mul_lo_u32 v51, v10, v30
	v_mad_u64_u32 v[38:39], null, v10, v80, 0
	v_add3_u32 v39, v39, v51, v11
; %bb.962:                              ;   in Loop: Header=BB2_939 Depth=3
	s_or_b32 exec_lo, exec_lo, s23
	v_cmp_eq_u32_e32 vcc_lo, 0, v53
	v_and_b32_e32 v52, 0x2000, v71
	s_mov_b32 s16, exec_lo
	v_cndmask_b32_e32 v51, 0xd0, v87, vcc_lo
	v_add_co_u32 v10, vcc_lo, v22, v38
	v_add_co_ci_u32_e64 v11, null, v23, v39, vcc_lo
	v_add_nc_u32_e32 v38, v0, v51
	ds_write_b64 v38, v[10:11] offset:584
	v_cmpx_ne_u32_e32 0, v52
	s_cbranch_execz .LBB2_964
; %bb.963:                              ;   in Loop: Header=BB2_939 Depth=3
	ds_read_b64 v[10:11], v0 offset:872
	s_waitcnt lgkmcnt(0)
	v_add_co_u32 v10, vcc_lo, v10, 1
	v_add_co_ci_u32_e64 v11, null, 0, v11, vcc_lo
	ds_write_b64 v0, v[10:11] offset:872
.LBB2_964:                              ;   in Loop: Header=BB2_939 Depth=3
	s_or_b32 exec_lo, exec_lo, s16
	v_mov_b32_e32 v39, v9
	v_mov_b32_e32 v38, v8
.LBB2_965:                              ;   in Loop: Header=BB2_939 Depth=3
	s_or_b32 exec_lo, exec_lo, s22
	s_xor_b32 s16, s19, -1
	s_and_b32 s16, exec_lo, s16
	s_or_b32 s18, s16, s18
	s_and_saveexec_b32 s16, s6
	s_cbranch_execz .LBB2_984
; %bb.966:                              ;   in Loop: Header=BB2_939 Depth=3
	s_and_saveexec_b32 s19, s29
	s_xor_b32 s19, exec_lo, s19
	s_cbranch_execz .LBB2_981
; %bb.967:                              ;   in Loop: Header=BB2_939 Depth=3
	s_and_saveexec_b32 s22, s11
	s_cbranch_execz .LBB2_980
; %bb.968:                              ;   in Loop: Header=BB2_939 Depth=3
	s_mov_b32 s61, exec_lo
	s_mov_b32 s23, exec_lo
	v_mbcnt_lo_u32_b32 v8, s61, 0
	s_waitcnt vmcnt(0) lgkmcnt(0)
	s_waitcnt_vscnt null, 0x0
	buffer_gl1_inv
	buffer_gl0_inv
	v_cmpx_eq_u32_e32 0, v8
	s_cbranch_execz .LBB2_970
; %bb.969:                              ;   in Loop: Header=BB2_939 Depth=3
	s_bcnt1_i32_b32 s61, s61
	v_mov_b32_e32 v9, v2
	v_mov_b32_e32 v8, s61
	ds_add_u64 v0, v[8:9]
	s_trap 2
.LBB2_970:                              ;   in Loop: Header=BB2_939 Depth=3
	s_or_b32 exec_lo, exec_lo, s23
	s_trap 2
	ds_read_b64 v[8:9], v0
	s_waitcnt lgkmcnt(0)
	buffer_gl0_inv
	v_add_co_u32 v12, vcc_lo, v12, v81
	v_add_co_ci_u32_e64 v13, null, 0, v13, vcc_lo
	s_mov_b32 s23, exec_lo
	v_cmpx_lt_u64_e64 v[8:9], v[12:13]
	s_cbranch_execz .LBB2_979
; %bb.971:                              ;   in Loop: Header=BB2_939 Depth=3
	s_mov_b32 s61, 0
	s_mov_b32 s72, 0
                                        ; implicit-def: $sgpr62
                                        ; implicit-def: $sgpr63
	s_inst_prefetch 0x1
	s_branch .LBB2_973
	.p2align	6
.LBB2_972:                              ;   in Loop: Header=BB2_973 Depth=4
	s_or_b32 exec_lo, exec_lo, s74
	s_and_b32 s73, exec_lo, s75
	s_or_b32 s61, s73, s61
	s_andn2_b32 s62, s62, exec_lo
	s_and_b32 s73, s63, exec_lo
	s_or_b32 s62, s62, s73
	s_andn2_b32 exec_lo, exec_lo, s61
	s_cbranch_execz .LBB2_977
.LBB2_973:                              ;   Parent Loop BB2_47 Depth=1
                                        ;     Parent Loop BB2_753 Depth=2
                                        ;       Parent Loop BB2_939 Depth=3
                                        ; =>      This Inner Loop Header: Depth=4
	s_add_i32 s72, s72, 1
	s_cmpk_lg_i32 s72, 0x2710
	s_cselect_b32 s73, -1, 0
	s_and_b32 vcc_lo, exec_lo, s73
	s_cbranch_vccz .LBB2_975
; %bb.974:                              ;   in Loop: Header=BB2_973 Depth=4
	s_mov_b32 s75, -1
	s_or_b32 s63, s63, exec_lo
	s_and_saveexec_b32 s74, s73
	s_cbranch_execz .LBB2_972
	s_branch .LBB2_976
	.p2align	6
.LBB2_975:                              ;   in Loop: Header=BB2_973 Depth=4
	s_trap 2
	ds_read_b64 v[8:9], v0
	s_andn2_b32 s73, s73, exec_lo
	s_mov_b32 s72, 0
	s_waitcnt lgkmcnt(0)
	flat_load_dword v8, v[8:9] glc dlc
	s_waitcnt vmcnt(0) lgkmcnt(0)
	buffer_gl1_inv
	buffer_gl0_inv
	v_cmp_eq_u32_e32 vcc_lo, 0, v8
	s_and_b32 s74, vcc_lo, exec_lo
	s_or_b32 s73, s73, s74
	s_mov_b32 s75, -1
	s_or_b32 s63, s63, exec_lo
	s_and_saveexec_b32 s74, s73
	s_cbranch_execz .LBB2_972
.LBB2_976:                              ;   in Loop: Header=BB2_973 Depth=4
	s_sleep 1
	s_trap 2
	ds_read_b64 v[8:9], v0
	s_waitcnt lgkmcnt(0)
	buffer_gl0_inv
	s_andn2_b32 s63, s63, exec_lo
	v_cmp_ge_u64_e32 vcc_lo, v[8:9], v[12:13]
	s_orn2_b32 s75, vcc_lo, exec_lo
	s_branch .LBB2_972
.LBB2_977:                              ;   in Loop: Header=BB2_939 Depth=3
	s_inst_prefetch 0x2
	s_or_b32 exec_lo, exec_lo, s61
	s_and_saveexec_b32 s61, s62
	s_xor_b32 s61, exec_lo, s61
	s_cbranch_execz .LBB2_979
; %bb.978:                              ;   in Loop: Header=BB2_939 Depth=3
	ds_write_b32 v0, v84
	s_trap 2
.LBB2_979:                              ;   in Loop: Header=BB2_939 Depth=3
	s_or_b32 exec_lo, exec_lo, s23
	;;#ASMSTART
	s_wakeup
	;;#ASMEND
.LBB2_980:                              ;   in Loop: Header=BB2_939 Depth=3
	s_or_b32 exec_lo, exec_lo, s22
.LBB2_981:                              ;   in Loop: Header=BB2_939 Depth=3
	s_andn2_saveexec_b32 s19, s19
	s_cbranch_execz .LBB2_983
; %bb.982:                              ;   in Loop: Header=BB2_939 Depth=3
	s_waitcnt vmcnt(0) lgkmcnt(0)
	s_waitcnt_vscnt null, 0x0
	buffer_gl1_inv
	buffer_gl0_inv
	s_barrier
.LBB2_983:                              ;   in Loop: Header=BB2_939 Depth=3
	s_or_b32 exec_lo, exec_lo, s19
.LBB2_984:                              ;   in Loop: Header=BB2_939 Depth=3
	s_or_b32 exec_lo, exec_lo, s16
	v_and_b32_e32 v8, 16, v71
	s_and_saveexec_b32 s16, s12
	s_xor_b32 s19, exec_lo, s16
	s_cbranch_execz .LBB2_988
; %bb.985:                              ;   in Loop: Header=BB2_939 Depth=3
	s_trap 2
	ds_read_b32 v8, v0
	v_cmp_lt_i32_e32 vcc_lo, 0, v50
	s_waitcnt lgkmcnt(0)
	v_readfirstlane_b32 s16, v8
	v_and_b32_e32 v8, 16, v71
	s_cmp_eq_u32 s16, 0
	v_cmp_ne_u32_e64 s16, 0, v8
	s_cselect_b32 s22, -1, 0
	v_and_b32_e32 v8, 16, v71
	s_and_b32 s22, vcc_lo, s22
	s_and_b32 s22, s16, s22
	s_and_saveexec_b32 s16, s22
	s_cbranch_execz .LBB2_987
; %bb.986:                              ;   in Loop: Header=BB2_939 Depth=3
	v_mov_b32_e32 v8, 1
	s_waitcnt vmcnt(0)
	s_waitcnt_vscnt null, 0x0
	buffer_gl1_inv
	buffer_gl0_inv
.LBB2_987:                              ;   in Loop: Header=BB2_939 Depth=3
	s_or_b32 exec_lo, exec_lo, s16
.LBB2_988:                              ;   in Loop: Header=BB2_939 Depth=3
	s_andn2_saveexec_b32 s16, s19
	s_cbranch_execz .LBB2_1007
; %bb.989:                              ;   in Loop: Header=BB2_939 Depth=3
	s_and_saveexec_b32 s19, s29
	s_xor_b32 s19, exec_lo, s19
	s_cbranch_execz .LBB2_1004
; %bb.990:                              ;   in Loop: Header=BB2_939 Depth=3
	s_and_saveexec_b32 s22, s11
	s_cbranch_execz .LBB2_1003
; %bb.991:                              ;   in Loop: Header=BB2_939 Depth=3
	s_mov_b32 s61, exec_lo
	s_mov_b32 s23, exec_lo
	v_mbcnt_lo_u32_b32 v9, s61, 0
	;;#ASMSTART
	s_waitcnt lgkmcnt(0) vmcnt(0)
	;;#ASMEND
	v_cmpx_eq_u32_e32 0, v9
	s_cbranch_execz .LBB2_993
; %bb.992:                              ;   in Loop: Header=BB2_939 Depth=3
	s_bcnt1_i32_b32 s61, s61
	v_mov_b32_e32 v10, v2
	v_mov_b32_e32 v9, s61
	s_waitcnt vmcnt(0) lgkmcnt(0)
	s_waitcnt_vscnt null, 0x0
	ds_add_u64 v0, v[9:10]
	s_trap 2
.LBB2_993:                              ;   in Loop: Header=BB2_939 Depth=3
	s_or_b32 exec_lo, exec_lo, s23
	s_trap 2
	ds_read_b64 v[9:10], v0
	s_waitcnt vmcnt(0) lgkmcnt(0)
	buffer_gl0_inv
	v_add_co_u32 v12, vcc_lo, v12, v81
	v_add_co_ci_u32_e64 v13, null, 0, v13, vcc_lo
	s_mov_b32 s23, exec_lo
	v_cmpx_lt_u64_e64 v[9:10], v[12:13]
	s_cbranch_execz .LBB2_1002
; %bb.994:                              ;   in Loop: Header=BB2_939 Depth=3
	s_mov_b32 s61, 0
	s_mov_b32 s72, 0
                                        ; implicit-def: $sgpr62
                                        ; implicit-def: $sgpr63
	s_inst_prefetch 0x1
	s_branch .LBB2_996
	.p2align	6
.LBB2_995:                              ;   in Loop: Header=BB2_996 Depth=4
	s_or_b32 exec_lo, exec_lo, s74
	s_and_b32 s73, exec_lo, s75
	s_or_b32 s61, s73, s61
	s_andn2_b32 s62, s62, exec_lo
	s_and_b32 s73, s63, exec_lo
	s_or_b32 s62, s62, s73
	s_andn2_b32 exec_lo, exec_lo, s61
	s_cbranch_execz .LBB2_1000
.LBB2_996:                              ;   Parent Loop BB2_47 Depth=1
                                        ;     Parent Loop BB2_753 Depth=2
                                        ;       Parent Loop BB2_939 Depth=3
                                        ; =>      This Inner Loop Header: Depth=4
	s_add_i32 s72, s72, 1
	s_cmpk_lg_i32 s72, 0x2710
	s_cselect_b32 s73, -1, 0
	s_and_b32 vcc_lo, exec_lo, s73
	s_cbranch_vccz .LBB2_998
; %bb.997:                              ;   in Loop: Header=BB2_996 Depth=4
	s_mov_b32 s75, -1
	s_or_b32 s63, s63, exec_lo
	s_and_saveexec_b32 s74, s73
	s_cbranch_execz .LBB2_995
	s_branch .LBB2_999
	.p2align	6
.LBB2_998:                              ;   in Loop: Header=BB2_996 Depth=4
	s_trap 2
	ds_read_b64 v[9:10], v0
	s_andn2_b32 s73, s73, exec_lo
	s_mov_b32 s72, 0
	s_waitcnt lgkmcnt(0)
	s_waitcnt_vscnt null, 0x0
	flat_load_dword v9, v[9:10] glc dlc
	s_waitcnt vmcnt(0) lgkmcnt(0)
	buffer_gl1_inv
	buffer_gl0_inv
	v_cmp_eq_u32_e32 vcc_lo, 0, v9
	s_and_b32 s74, vcc_lo, exec_lo
	s_or_b32 s73, s73, s74
	s_mov_b32 s75, -1
	s_or_b32 s63, s63, exec_lo
	s_and_saveexec_b32 s74, s73
	s_cbranch_execz .LBB2_995
.LBB2_999:                              ;   in Loop: Header=BB2_996 Depth=4
	s_sleep 1
	s_trap 2
	ds_read_b64 v[9:10], v0
	s_waitcnt lgkmcnt(0)
	buffer_gl0_inv
	s_andn2_b32 s63, s63, exec_lo
	v_cmp_ge_u64_e32 vcc_lo, v[9:10], v[12:13]
	s_orn2_b32 s75, vcc_lo, exec_lo
	s_branch .LBB2_995
.LBB2_1000:                             ;   in Loop: Header=BB2_939 Depth=3
	s_inst_prefetch 0x2
	s_or_b32 exec_lo, exec_lo, s61
	s_and_saveexec_b32 s61, s62
	s_xor_b32 s61, exec_lo, s61
	s_cbranch_execz .LBB2_1002
; %bb.1001:                             ;   in Loop: Header=BB2_939 Depth=3
	ds_write_b32 v0, v84
	s_trap 2
.LBB2_1002:                             ;   in Loop: Header=BB2_939 Depth=3
	s_or_b32 exec_lo, exec_lo, s23
	;;#ASMSTART
	s_wakeup
	;;#ASMEND
.LBB2_1003:                             ;   in Loop: Header=BB2_939 Depth=3
	s_or_b32 exec_lo, exec_lo, s22
.LBB2_1004:                             ;   in Loop: Header=BB2_939 Depth=3
	s_andn2_saveexec_b32 s19, s19
	s_cbranch_execz .LBB2_1006
; %bb.1005:                             ;   in Loop: Header=BB2_939 Depth=3
	;;#ASMSTART
	s_waitcnt lgkmcnt(0) vmcnt(0)
	;;#ASMEND
	s_barrier
.LBB2_1006:                             ;   in Loop: Header=BB2_939 Depth=3
	s_or_b32 exec_lo, exec_lo, s19
.LBB2_1007:                             ;   in Loop: Header=BB2_939 Depth=3
	s_or_b32 exec_lo, exec_lo, s16
	v_cmp_ne_u32_e32 vcc_lo, 0, v8
	s_xor_b32 s16, s7, -1
	s_and_b32 s19, vcc_lo, s16
	s_and_saveexec_b32 s16, s19
	s_cbranch_execz .LBB2_1009
; %bb.1008:                             ;   in Loop: Header=BB2_939 Depth=3
	s_waitcnt vmcnt(0) lgkmcnt(0)
	s_waitcnt_vscnt null, 0x0
	flat_store_dword v[24:25], v84
.LBB2_1009:                             ;   in Loop: Header=BB2_939 Depth=3
	s_or_b32 exec_lo, exec_lo, s16
	v_and_b32_e32 v8, 48, v71
	s_mov_b32 s16, exec_lo
	v_cmpx_ne_u32_e32 0, v8
	s_cbranch_execz .LBB2_938
; %bb.1010:                             ;   in Loop: Header=BB2_939 Depth=3
	v_add_co_u32 v38, vcc_lo, v38, 2
	v_add_co_ci_u32_e64 v39, null, 0, v39, vcc_lo
	s_waitcnt vmcnt(0) lgkmcnt(0)
	s_waitcnt_vscnt null, 0x0
	flat_store_dwordx2 v[20:21], v[38:39]
	s_branch .LBB2_938
.LBB2_1011:                             ;   in Loop: Header=BB2_753 Depth=2
	s_or_b32 exec_lo, exec_lo, s18
.LBB2_1012:                             ;   in Loop: Header=BB2_753 Depth=2
	s_or_b32 exec_lo, exec_lo, s17
	s_add_i32 s16, s21, 1
	s_cmp_eq_u32 s21, s56
	s_cbranch_scc1 .LBB2_1014
; %bb.1013:                             ;   in Loop: Header=BB2_753 Depth=2
	s_mov_b32 s21, s16
	s_branch .LBB2_753
.LBB2_1014:                             ;   in Loop: Header=BB2_47 Depth=1
	v_mul_lo_u32 v3, v37, s58
	v_mul_lo_u32 v10, v36, s59
	v_mad_u64_u32 v[8:9], null, v36, s58, 0
	v_mov_b32_e32 v51, 0
	v_add3_u32 v9, v9, v10, v3
	v_sub_co_u32 v10, vcc_lo, v48, v8
	v_sub_co_ci_u32_e64 v11, null, v49, v9, vcc_lo
	v_cmp_lt_i64_e32 vcc_lo, v[36:37], v[10:11]
	v_cndmask_b32_e32 v11, v10, v36, vcc_lo
	v_max_i32_e32 v3, 0, v11
	v_cmp_lt_i32_e32 vcc_lo, 0, v11
	v_add_nc_u32_e32 v10, 31, v3
	s_and_b32 s16, s57, vcc_lo
	v_lshrrev_b32_e32 v10, 1, v10
	v_and_b32_e32 v48, 0x3ffffff0, v10
	v_mov_b32_e32 v10, 0
	v_max_i32_e32 v50, s45, v48
	s_and_saveexec_b32 s18, s16
	s_cbranch_execz .LBB2_1154
; %bb.1015:                             ;   in Loop: Header=BB2_47 Depth=1
	v_add_co_u32 v52, vcc_lo, v8, v119
	v_add_co_ci_u32_e64 v53, null, v9, v40, vcc_lo
	v_mov_b32_e32 v51, 0
	s_mov_b32 s22, 1
	s_mov_b32 s21, -1
	s_mov_b32 s19, 0
	s_branch .LBB2_1017
.LBB2_1016:                             ;   in Loop: Header=BB2_1017 Depth=2
	s_or_b32 exec_lo, exec_lo, s16
	v_add_nc_u32_e32 v51, v50, v51
	s_xor_b32 s16, s21, -1
	v_mov_b32_e32 v10, s22
	s_mov_b32 s21, 0
	s_mov_b32 s22, 2
	v_cmp_ge_i32_e32 vcc_lo, v51, v3
	s_or_b32 s16, s16, vcc_lo
	s_and_b32 s16, exec_lo, s16
	s_or_b32 s19, s16, s19
	s_andn2_b32 exec_lo, exec_lo, s19
	s_cbranch_execz .LBB2_1153
.LBB2_1017:                             ;   Parent Loop BB2_47 Depth=1
                                        ; =>  This Loop Header: Depth=2
                                        ;       Child Loop BB2_1025 Depth 3
                                        ;       Child Loop BB2_1049 Depth 3
	;; [unrolled: 1-line block ×9, first 2 shown]
	s_and_saveexec_b32 s17, s4
	s_cbranch_execz .LBB2_1019
; %bb.1018:                             ;   in Loop: Header=BB2_1017 Depth=2
	s_trap 2
	ds_read_b128 v[8:11], v0
	v_ashrrev_i32_e32 v48, 31, v51
	s_waitcnt lgkmcnt(0)
	v_add_co_u32 v49, vcc_lo, v10, v52
	v_add_co_ci_u32_e64 v54, null, v11, v53, vcc_lo
	v_add_co_u32 v8, vcc_lo, v8, v52
	v_add_co_ci_u32_e64 v9, null, v9, v53, vcc_lo
	;; [unrolled: 2-line block ×3, first 2 shown]
	v_cmp_ne_u64_e32 vcc_lo, 0, v[10:11]
	v_add_co_u32 v8, s16, v8, v51
	v_add_co_ci_u32_e64 v9, null, v9, v48, s16
	v_cndmask_b32_e32 v11, 0, v54, vcc_lo
	v_cndmask_b32_e32 v10, 0, v49, vcc_lo
	ds_write_b64 v0, v[8:9]
	ds_write_b64 v0, v[10:11]
.LBB2_1019:                             ;   in Loop: Header=BB2_1017 Depth=2
	s_or_b32 exec_lo, exec_lo, s17
	v_and_b32_e32 v8, 4, v71
	s_mov_b32 s17, exec_lo
	v_cmpx_ne_u32_e32 0, v8
	s_cbranch_execz .LBB2_1041
; %bb.1020:                             ;   in Loop: Header=BB2_1017 Depth=2
	v_add_co_u32 v8, vcc_lo, v38, 2
	v_add_co_ci_u32_e64 v9, null, 0, v39, vcc_lo
	s_mov_b32 s23, exec_lo
	s_waitcnt vmcnt(0) lgkmcnt(1)
	v_cmpx_lt_u64_e64 v[26:27], v[8:9]
	s_cbranch_execz .LBB2_1032
; %bb.1021:                             ;   in Loop: Header=BB2_1017 Depth=2
	v_and_b32_e32 v10, 64, v71
	s_mov_b32 s61, 0
	s_mov_b32 s73, 0
                                        ; implicit-def: $sgpr62
                                        ; implicit-def: $sgpr63
                                        ; implicit-def: $sgpr72
	v_cmp_eq_u32_e32 vcc_lo, 0, v10
	s_branch .LBB2_1025
.LBB2_1022:                             ;   in Loop: Header=BB2_1025 Depth=3
	s_waitcnt vmcnt(0) lgkmcnt(0)
	v_cmp_ge_u64_e64 s16, v[26:27], v[8:9]
	s_or_b32 s76, s76, exec_lo
	s_orn2_b32 s75, s16, exec_lo
.LBB2_1023:                             ;   in Loop: Header=BB2_1025 Depth=3
	s_or_b32 exec_lo, exec_lo, s78
	s_andn2_b32 s16, s72, exec_lo
	s_and_b32 s72, s76, exec_lo
	s_andn2_b32 s63, s63, exec_lo
	s_and_b32 s75, s75, exec_lo
	s_or_b32 s72, s16, s72
	s_or_b32 s63, s63, s75
.LBB2_1024:                             ;   in Loop: Header=BB2_1025 Depth=3
	s_or_b32 exec_lo, exec_lo, s74
	s_and_b32 s16, exec_lo, s63
	s_or_b32 s61, s16, s61
	s_andn2_b32 s16, s62, exec_lo
	s_and_b32 s62, s72, exec_lo
	s_or_b32 s62, s16, s62
	s_andn2_b32 exec_lo, exec_lo, s61
	s_cbranch_execz .LBB2_1029
.LBB2_1025:                             ;   Parent Loop BB2_47 Depth=1
                                        ;     Parent Loop BB2_1017 Depth=2
                                        ; =>    This Inner Loop Header: Depth=3
	s_sleep 1
	s_waitcnt vmcnt(0) lgkmcnt(0)
	flat_load_dwordx2 v[26:27], v[20:21] glc dlc
	s_or_b32 s72, s72, exec_lo
	s_or_b32 s63, s63, exec_lo
                                        ; implicit-def: $vgpr10
	s_and_saveexec_b32 s74, vcc_lo
	s_cbranch_execz .LBB2_1024
; %bb.1026:                             ;   in Loop: Header=BB2_1025 Depth=3
	s_cmpk_lt_i32 s73, 0x270f
	s_mov_b32 s75, -1
	s_cselect_b32 s77, -1, 0
	s_cmpk_gt_i32 s73, 0x270e
	s_cbranch_scc0 .LBB2_1028
; %bb.1027:                             ;   in Loop: Header=BB2_1025 Depth=3
	s_trap 2
	ds_read_b64 v[10:11], v0
	s_andn2_b32 s73, s77, exec_lo
	s_mov_b32 s76, 0
	s_waitcnt vmcnt(0) lgkmcnt(0)
	s_waitcnt_vscnt null, 0x0
	flat_load_dword v10, v[10:11] glc dlc
	s_waitcnt vmcnt(0) lgkmcnt(0)
	buffer_gl1_inv
	buffer_gl0_inv
	v_cmp_eq_u32_e64 s16, 0, v10
	s_and_b32 s16, s16, exec_lo
	s_or_b32 s77, s73, s16
	s_mov_b32 s73, 0
	s_and_saveexec_b32 s78, s77
	s_cbranch_execz .LBB2_1023
	s_branch .LBB2_1022
.LBB2_1028:                             ;   in Loop: Header=BB2_1025 Depth=3
	s_add_i32 s73, s73, 1
	s_mov_b32 s76, -1
                                        ; implicit-def: $vgpr10
	s_and_saveexec_b32 s78, s77
	s_cbranch_execz .LBB2_1023
	s_branch .LBB2_1022
.LBB2_1029:                             ;   in Loop: Header=BB2_1017 Depth=2
	s_or_b32 exec_lo, exec_lo, s61
	s_xor_b32 s16, s62, -1
	s_and_saveexec_b32 s61, s16
	s_xor_b32 s16, exec_lo, s61
	s_cbranch_execz .LBB2_1031
; %bb.1030:                             ;   in Loop: Header=BB2_1017 Depth=2
	v_or_b32_e32 v71, 64, v71
	s_waitcnt vmcnt(0) lgkmcnt(0)
	s_waitcnt_vscnt null, 0x0
	ds_write_b32 v0, v10
	s_trap 2
.LBB2_1031:                             ;   in Loop: Header=BB2_1017 Depth=2
	s_or_b32 exec_lo, exec_lo, s16
.LBB2_1032:                             ;   in Loop: Header=BB2_1017 Depth=2
	s_or_b32 exec_lo, exec_lo, s23
	v_and_b32_e32 v10, 0x100, v71
	v_and_b32_e32 v48, 7, v38
	s_mov_b32 s16, -1
	;;#ASMSTART
	s_wakeup
	;;#ASMEND
	v_cmp_ne_u32_e32 vcc_lo, 0, v10
                                        ; implicit-def: $vgpr10_vgpr11
	s_and_saveexec_b32 s23, vcc_lo
	s_cbranch_execz .LBB2_1036
; %bb.1033:                             ;   in Loop: Header=BB2_1017 Depth=2
	v_mad_u64_u32 v[38:39], null, v48, 24, v[6:7]
	flat_load_dword v10, v[38:39]
	s_waitcnt vmcnt(0) lgkmcnt(0)
	v_cmp_eq_u32_e64 s16, 1, v10
	v_cmp_ne_u32_e32 vcc_lo, 1, v10
                                        ; implicit-def: $vgpr10_vgpr11
	s_and_saveexec_b32 s61, s16
	s_cbranch_execz .LBB2_1035
; %bb.1034:                             ;   in Loop: Header=BB2_1017 Depth=2
	flat_load_dword v10, v[38:39] offset:4 glc dlc
	s_waitcnt vmcnt(0) lgkmcnt(0)
	v_ashrrev_i32_e32 v11, 31, v10
.LBB2_1035:                             ;   in Loop: Header=BB2_1017 Depth=2
	s_or_b32 exec_lo, exec_lo, s61
	s_orn2_b32 s16, vcc_lo, exec_lo
.LBB2_1036:                             ;   in Loop: Header=BB2_1017 Depth=2
	s_or_b32 exec_lo, exec_lo, s23
	s_and_saveexec_b32 s23, s16
; %bb.1037:                             ;   in Loop: Header=BB2_1017 Depth=2
	v_mad_i64_i32 v[10:11], null, v48, v80, 0
; %bb.1038:                             ;   in Loop: Header=BB2_1017 Depth=2
	s_or_b32 exec_lo, exec_lo, s23
	v_add_co_u32 v10, vcc_lo, v22, v10
	v_and_b32_e32 v38, 0x2000, v71
	v_add_co_ci_u32_e64 v11, null, v23, v11, vcc_lo
	s_mov_b32 s16, exec_lo
	ds_write_b64 v0, v[10:11] offset:720
	v_cmpx_ne_u32_e32 0, v38
	s_cbranch_execz .LBB2_1040
; %bb.1039:                             ;   in Loop: Header=BB2_1017 Depth=2
	ds_read_b64 v[10:11], v0 offset:872
	s_waitcnt lgkmcnt(0)
	v_add_co_u32 v10, vcc_lo, v10, 1
	v_add_co_ci_u32_e64 v11, null, 0, v11, vcc_lo
	ds_write_b64 v0, v[10:11] offset:872
.LBB2_1040:                             ;   in Loop: Header=BB2_1017 Depth=2
	s_or_b32 exec_lo, exec_lo, s16
	v_mov_b32_e32 v39, v9
	v_mov_b32_e32 v38, v8
.LBB2_1041:                             ;   in Loop: Header=BB2_1017 Depth=2
	s_or_b32 exec_lo, exec_lo, s17
	s_and_saveexec_b32 s16, s6
	s_cbranch_execz .LBB2_1060
; %bb.1042:                             ;   in Loop: Header=BB2_1017 Depth=2
	s_and_saveexec_b32 s17, s29
	s_xor_b32 s17, exec_lo, s17
	s_cbranch_execz .LBB2_1057
; %bb.1043:                             ;   in Loop: Header=BB2_1017 Depth=2
	s_and_saveexec_b32 s23, s11
	s_cbranch_execz .LBB2_1056
; %bb.1044:                             ;   in Loop: Header=BB2_1017 Depth=2
	s_mov_b32 s62, exec_lo
	s_mov_b32 s61, exec_lo
	v_mbcnt_lo_u32_b32 v8, s62, 0
	s_waitcnt vmcnt(0) lgkmcnt(0)
	s_waitcnt_vscnt null, 0x0
	buffer_gl1_inv
	buffer_gl0_inv
	v_cmpx_eq_u32_e32 0, v8
	s_cbranch_execz .LBB2_1046
; %bb.1045:                             ;   in Loop: Header=BB2_1017 Depth=2
	s_bcnt1_i32_b32 s62, s62
	v_mov_b32_e32 v9, v2
	v_mov_b32_e32 v8, s62
	ds_add_u64 v0, v[8:9]
	s_trap 2
.LBB2_1046:                             ;   in Loop: Header=BB2_1017 Depth=2
	s_or_b32 exec_lo, exec_lo, s61
	s_trap 2
	ds_read_b64 v[8:9], v0
	s_waitcnt lgkmcnt(0)
	buffer_gl0_inv
	v_add_co_u32 v12, vcc_lo, v12, v81
	v_add_co_ci_u32_e64 v13, null, 0, v13, vcc_lo
	s_mov_b32 s61, exec_lo
	v_cmpx_lt_u64_e64 v[8:9], v[12:13]
	s_cbranch_execz .LBB2_1055
; %bb.1047:                             ;   in Loop: Header=BB2_1017 Depth=2
	s_mov_b32 s62, 0
	s_mov_b32 s73, 0
                                        ; implicit-def: $sgpr63
                                        ; implicit-def: $sgpr72
	s_inst_prefetch 0x1
	s_branch .LBB2_1049
	.p2align	6
.LBB2_1048:                             ;   in Loop: Header=BB2_1049 Depth=3
	s_or_b32 exec_lo, exec_lo, s75
	s_and_b32 s74, exec_lo, s76
	s_or_b32 s62, s74, s62
	s_andn2_b32 s63, s63, exec_lo
	s_and_b32 s74, s72, exec_lo
	s_or_b32 s63, s63, s74
	s_andn2_b32 exec_lo, exec_lo, s62
	s_cbranch_execz .LBB2_1053
.LBB2_1049:                             ;   Parent Loop BB2_47 Depth=1
                                        ;     Parent Loop BB2_1017 Depth=2
                                        ; =>    This Inner Loop Header: Depth=3
	s_add_i32 s73, s73, 1
	s_cmpk_lg_i32 s73, 0x2710
	s_cselect_b32 s74, -1, 0
	s_and_b32 vcc_lo, exec_lo, s74
	s_cbranch_vccz .LBB2_1051
; %bb.1050:                             ;   in Loop: Header=BB2_1049 Depth=3
	s_mov_b32 s76, -1
	s_or_b32 s72, s72, exec_lo
	s_and_saveexec_b32 s75, s74
	s_cbranch_execz .LBB2_1048
	s_branch .LBB2_1052
	.p2align	6
.LBB2_1051:                             ;   in Loop: Header=BB2_1049 Depth=3
	s_trap 2
	ds_read_b64 v[8:9], v0
	s_andn2_b32 s74, s74, exec_lo
	s_mov_b32 s73, 0
	s_waitcnt lgkmcnt(0)
	flat_load_dword v8, v[8:9] glc dlc
	s_waitcnt vmcnt(0) lgkmcnt(0)
	buffer_gl1_inv
	buffer_gl0_inv
	v_cmp_eq_u32_e32 vcc_lo, 0, v8
	s_and_b32 s75, vcc_lo, exec_lo
	s_or_b32 s74, s74, s75
	s_mov_b32 s76, -1
	s_or_b32 s72, s72, exec_lo
	s_and_saveexec_b32 s75, s74
	s_cbranch_execz .LBB2_1048
.LBB2_1052:                             ;   in Loop: Header=BB2_1049 Depth=3
	s_sleep 1
	s_trap 2
	ds_read_b64 v[8:9], v0
	s_waitcnt lgkmcnt(0)
	buffer_gl0_inv
	s_andn2_b32 s72, s72, exec_lo
	v_cmp_ge_u64_e32 vcc_lo, v[8:9], v[12:13]
	s_orn2_b32 s76, vcc_lo, exec_lo
	s_branch .LBB2_1048
.LBB2_1053:                             ;   in Loop: Header=BB2_1017 Depth=2
	s_inst_prefetch 0x2
	s_or_b32 exec_lo, exec_lo, s62
	s_and_saveexec_b32 s62, s63
	s_xor_b32 s62, exec_lo, s62
	s_cbranch_execz .LBB2_1055
; %bb.1054:                             ;   in Loop: Header=BB2_1017 Depth=2
	ds_write_b32 v0, v84
	s_trap 2
.LBB2_1055:                             ;   in Loop: Header=BB2_1017 Depth=2
	s_or_b32 exec_lo, exec_lo, s61
	;;#ASMSTART
	s_wakeup
	;;#ASMEND
.LBB2_1056:                             ;   in Loop: Header=BB2_1017 Depth=2
	s_or_b32 exec_lo, exec_lo, s23
.LBB2_1057:                             ;   in Loop: Header=BB2_1017 Depth=2
	s_andn2_saveexec_b32 s17, s17
	s_cbranch_execz .LBB2_1059
; %bb.1058:                             ;   in Loop: Header=BB2_1017 Depth=2
	s_waitcnt vmcnt(0) lgkmcnt(0)
	s_waitcnt_vscnt null, 0x0
	buffer_gl1_inv
	buffer_gl0_inv
	s_barrier
.LBB2_1059:                             ;   in Loop: Header=BB2_1017 Depth=2
	s_or_b32 exec_lo, exec_lo, s17
.LBB2_1060:                             ;   in Loop: Header=BB2_1017 Depth=2
	s_or_b32 exec_lo, exec_lo, s16
	s_trap 2
	ds_read_b32 v48, v0
	v_and_b32_e32 v8, 0x4000, v71
	s_xor_b32 s16, s5, -1
	v_cmp_ne_u32_e32 vcc_lo, 0, v8
	s_and_b32 s17, s16, vcc_lo
	s_and_saveexec_b32 s16, s17
	s_cbranch_execz .LBB2_1079
; %bb.1061:                             ;   in Loop: Header=BB2_1017 Depth=2
	s_and_saveexec_b32 s17, s29
	s_xor_b32 s17, exec_lo, s17
	s_cbranch_execz .LBB2_1076
; %bb.1062:                             ;   in Loop: Header=BB2_1017 Depth=2
	s_and_saveexec_b32 s23, s11
	s_cbranch_execz .LBB2_1075
; %bb.1063:                             ;   in Loop: Header=BB2_1017 Depth=2
	s_mov_b32 s62, exec_lo
	s_mov_b32 s61, exec_lo
	v_mbcnt_lo_u32_b32 v8, s62, 0
	s_waitcnt vmcnt(0) lgkmcnt(0)
	s_waitcnt_vscnt null, 0x0
	buffer_gl1_inv
	buffer_gl0_inv
	v_cmpx_eq_u32_e32 0, v8
	s_cbranch_execz .LBB2_1065
; %bb.1064:                             ;   in Loop: Header=BB2_1017 Depth=2
	s_bcnt1_i32_b32 s62, s62
	v_mov_b32_e32 v9, v2
	v_mov_b32_e32 v8, s62
	ds_add_u64 v0, v[8:9]
	s_trap 2
.LBB2_1065:                             ;   in Loop: Header=BB2_1017 Depth=2
	s_or_b32 exec_lo, exec_lo, s61
	s_trap 2
	ds_read_b64 v[8:9], v0
	s_waitcnt lgkmcnt(0)
	buffer_gl0_inv
	v_add_co_u32 v12, vcc_lo, v12, v81
	v_add_co_ci_u32_e64 v13, null, 0, v13, vcc_lo
	s_mov_b32 s61, exec_lo
	v_cmpx_lt_u64_e64 v[8:9], v[12:13]
	s_cbranch_execz .LBB2_1074
; %bb.1066:                             ;   in Loop: Header=BB2_1017 Depth=2
	s_mov_b32 s62, 0
	s_mov_b32 s73, 0
                                        ; implicit-def: $sgpr63
                                        ; implicit-def: $sgpr72
	s_inst_prefetch 0x1
	s_branch .LBB2_1068
	.p2align	6
.LBB2_1067:                             ;   in Loop: Header=BB2_1068 Depth=3
	s_or_b32 exec_lo, exec_lo, s75
	s_and_b32 s74, exec_lo, s76
	s_or_b32 s62, s74, s62
	s_andn2_b32 s63, s63, exec_lo
	s_and_b32 s74, s72, exec_lo
	s_or_b32 s63, s63, s74
	s_andn2_b32 exec_lo, exec_lo, s62
	s_cbranch_execz .LBB2_1072
.LBB2_1068:                             ;   Parent Loop BB2_47 Depth=1
                                        ;     Parent Loop BB2_1017 Depth=2
                                        ; =>    This Inner Loop Header: Depth=3
	s_add_i32 s73, s73, 1
	s_cmpk_lg_i32 s73, 0x2710
	s_cselect_b32 s74, -1, 0
	s_and_b32 vcc_lo, exec_lo, s74
	s_cbranch_vccz .LBB2_1070
; %bb.1069:                             ;   in Loop: Header=BB2_1068 Depth=3
	s_mov_b32 s76, -1
	s_or_b32 s72, s72, exec_lo
	s_and_saveexec_b32 s75, s74
	s_cbranch_execz .LBB2_1067
	s_branch .LBB2_1071
	.p2align	6
.LBB2_1070:                             ;   in Loop: Header=BB2_1068 Depth=3
	s_trap 2
	ds_read_b64 v[8:9], v0
	s_andn2_b32 s74, s74, exec_lo
	s_mov_b32 s73, 0
	s_waitcnt lgkmcnt(0)
	flat_load_dword v8, v[8:9] glc dlc
	s_waitcnt vmcnt(0) lgkmcnt(0)
	buffer_gl1_inv
	buffer_gl0_inv
	v_cmp_eq_u32_e32 vcc_lo, 0, v8
	s_and_b32 s75, vcc_lo, exec_lo
	s_or_b32 s74, s74, s75
	s_mov_b32 s76, -1
	s_or_b32 s72, s72, exec_lo
	s_and_saveexec_b32 s75, s74
	s_cbranch_execz .LBB2_1067
.LBB2_1071:                             ;   in Loop: Header=BB2_1068 Depth=3
	s_sleep 1
	s_trap 2
	ds_read_b64 v[8:9], v0
	s_waitcnt lgkmcnt(0)
	buffer_gl0_inv
	s_andn2_b32 s72, s72, exec_lo
	v_cmp_ge_u64_e32 vcc_lo, v[8:9], v[12:13]
	s_orn2_b32 s76, vcc_lo, exec_lo
	s_branch .LBB2_1067
.LBB2_1072:                             ;   in Loop: Header=BB2_1017 Depth=2
	s_inst_prefetch 0x2
	s_or_b32 exec_lo, exec_lo, s62
	s_and_saveexec_b32 s62, s63
	s_xor_b32 s62, exec_lo, s62
	s_cbranch_execz .LBB2_1074
; %bb.1073:                             ;   in Loop: Header=BB2_1017 Depth=2
	ds_write_b32 v0, v84
	s_trap 2
.LBB2_1074:                             ;   in Loop: Header=BB2_1017 Depth=2
	s_or_b32 exec_lo, exec_lo, s61
	;;#ASMSTART
	s_wakeup
	;;#ASMEND
.LBB2_1075:                             ;   in Loop: Header=BB2_1017 Depth=2
	s_or_b32 exec_lo, exec_lo, s23
.LBB2_1076:                             ;   in Loop: Header=BB2_1017 Depth=2
	s_andn2_saveexec_b32 s17, s17
	s_cbranch_execz .LBB2_1078
; %bb.1077:                             ;   in Loop: Header=BB2_1017 Depth=2
	s_waitcnt vmcnt(0) lgkmcnt(0)
	s_waitcnt_vscnt null, 0x0
	buffer_gl1_inv
	buffer_gl0_inv
	s_barrier
.LBB2_1078:                             ;   in Loop: Header=BB2_1017 Depth=2
	s_or_b32 exec_lo, exec_lo, s17
.LBB2_1079:                             ;   in Loop: Header=BB2_1017 Depth=2
	s_or_b32 exec_lo, exec_lo, s16
	s_trap 2
	ds_read_b64 v[8:9], v0
	v_sub_nc_u32_e32 v10, v3, v51
	v_min_i32_e32 v50, v50, v10
	s_waitcnt lgkmcnt(0)
	v_cmp_eq_u64_e32 vcc_lo, 0, v[8:9]
	s_cbranch_vccnz .LBB2_1087
; %bb.1080:                             ;   in Loop: Header=BB2_1017 Depth=2
	s_trap 2
	ds_read_b64 v[10:11], v0
	s_waitcnt lgkmcnt(0)
	v_cmp_eq_u64_e32 vcc_lo, 0, v[10:11]
	s_cbranch_vccnz .LBB2_1087
; %bb.1081:                             ;   in Loop: Header=BB2_1017 Depth=2
	s_mov_b32 s16, -1
	s_and_saveexec_b32 s17, s14
	s_cbranch_execz .LBB2_1083
; %bb.1082:                             ;   in Loop: Header=BB2_1017 Depth=2
	ds_read_b32 v49, v0 offset:720
	s_waitcnt lgkmcnt(0)
	v_and_b32_e32 v49, 15, v49
	v_cmp_eq_u32_e32 vcc_lo, 0, v49
	s_orn2_b32 s16, vcc_lo, exec_lo
.LBB2_1083:                             ;   in Loop: Header=BB2_1017 Depth=2
	s_or_b32 exec_lo, exec_lo, s17
	s_and_saveexec_b32 s17, s13
	s_cbranch_execz .LBB2_1085
; %bb.1084:                             ;   in Loop: Header=BB2_1017 Depth=2
	ds_read_b32 v49, v0 offset:784
	s_waitcnt lgkmcnt(0)
	v_and_b32_e32 v49, 15, v49
	v_cmp_eq_u32_e32 vcc_lo, 0, v49
	s_and_b32 s23, s16, vcc_lo
	s_andn2_b32 s16, s16, exec_lo
	s_and_b32 s23, s23, exec_lo
	s_or_b32 s16, s16, s23
.LBB2_1085:                             ;   in Loop: Header=BB2_1017 Depth=2
	s_or_b32 exec_lo, exec_lo, s17
	v_cmp_eq_u32_e32 vcc_lo, 0, v48
	s_xor_b32 s16, s16, -1
	v_mov_b32_e32 v48, 0
	v_cndmask_b32_e64 v49, 0, 1, s16
	v_mov_b32_e32 v55, v0
	v_cndmask_b32_e32 v54, 0, v50, vcc_lo
	v_mov_b32_e32 v69, v103
	s_mov_b32 s16, -1
	v_cmp_ne_u32_e32 vcc_lo, 0, v49
	v_mov_b32_e32 v49, v54
	s_cbranch_vccz .LBB2_1092
; %bb.1086:                             ;   in Loop: Header=BB2_1017 Depth=2
	s_and_saveexec_b32 s17, s16
	s_cbranch_execnz .LBB2_1105
	s_branch .LBB2_1113
.LBB2_1087:                             ;   in Loop: Header=BB2_1017 Depth=2
	s_mov_b32 s16, 0
	s_and_saveexec_b32 s17, s6
	s_cbranch_execnz .LBB2_1114
.LBB2_1088:                             ;   in Loop: Header=BB2_1017 Depth=2
	s_or_b32 exec_lo, exec_lo, s17
	s_and_saveexec_b32 s17, s12
	s_xor_b32 s17, exec_lo, s17
	s_cbranch_execz .LBB2_1132
.LBB2_1089:                             ;   in Loop: Header=BB2_1017 Depth=2
	v_and_b32_e32 v8, 16, v71
	v_cmp_ne_u32_e32 vcc_lo, 0, v8
	s_and_b32 s23, vcc_lo, s16
	s_and_saveexec_b32 s16, s23
	s_cbranch_execz .LBB2_1091
; %bb.1090:                             ;   in Loop: Header=BB2_1017 Depth=2
	s_waitcnt vmcnt(0) lgkmcnt(0)
	s_waitcnt_vscnt null, 0x0
	buffer_gl1_inv
	buffer_gl0_inv
.LBB2_1091:                             ;   in Loop: Header=BB2_1017 Depth=2
	s_or_b32 exec_lo, exec_lo, s16
	s_andn2_saveexec_b32 s16, s17
	s_cbranch_execz .LBB2_1151
	s_branch .LBB2_1133
.LBB2_1092:                             ;   in Loop: Header=BB2_1017 Depth=2
	v_ashrrev_i32_e32 v48, 31, v54
	s_mov_b32 s17, exec_lo
	v_lshrrev_b32_e32 v48, 22, v48
	v_add_nc_u32_e32 v48, v54, v48
	v_ashrrev_i32_e32 v55, 10, v48
	v_sub_nc_u32_e32 v65, v55, v103
	v_cmpx_lt_i32_e32 0, v65
	s_cbranch_execz .LBB2_1096
; %bb.1093:                             ;   in Loop: Header=BB2_1017 Depth=2
	v_mov_b32_e32 v49, v35
	v_mov_b32_e32 v48, v34
	s_mov_b32 s23, 0
	.p2align	6
.LBB2_1094:                             ;   Parent Loop BB2_47 Depth=1
                                        ;     Parent Loop BB2_1017 Depth=2
                                        ; =>    This Inner Loop Header: Depth=3
	v_add_co_u32 v40, vcc_lo, v8, v48
	v_add_co_ci_u32_e64 v41, null, v9, v49, vcc_lo
	v_sub_nc_u32_e32 v65, v65, v81
	v_add_co_u32 v44, vcc_lo, v10, v48
	s_clause 0x1
	global_load_dwordx4 v[66:69], v[40:41], off slc
	global_load_dwordx4 v[40:43], v[40:41], off offset:512 slc
	v_add_co_ci_u32_e64 v45, null, v11, v49, vcc_lo
	v_cmp_gt_i32_e32 vcc_lo, 1, v65
	v_add_co_u32 v48, s16, v48, v96
	v_add_co_ci_u32_e64 v49, null, 0, v49, s16
	s_or_b32 s23, vcc_lo, s23
	s_waitcnt vmcnt(1)
	global_store_dwordx4 v[44:45], v[66:69], off glc slc
	s_waitcnt vmcnt(0)
	global_store_dwordx4 v[44:45], v[40:43], off offset:512 glc slc
	s_andn2_b32 exec_lo, exec_lo, s23
	s_cbranch_execnz .LBB2_1094
; %bb.1095:                             ;   in Loop: Header=BB2_1017 Depth=2
	s_or_b32 exec_lo, exec_lo, s23
.LBB2_1096:                             ;   in Loop: Header=BB2_1017 Depth=2
	s_or_b32 exec_lo, exec_lo, s17
	v_lshlrev_b32_e32 v64, 10, v55
	v_mov_b32_e32 v48, 0
	s_mov_b32 s16, 0
	s_mov_b32 s23, exec_lo
                                        ; implicit-def: $vgpr49
                                        ; implicit-def: $vgpr55
                                        ; implicit-def: $vgpr69
	v_cmpx_ne_u32_e64 v54, v64
	s_cbranch_execz .LBB2_1104
; %bb.1097:                             ;   in Loop: Header=BB2_1017 Depth=2
	v_lshlrev_b32_e32 v48, 5, v65
	v_sub_nc_u32_e32 v55, v54, v64
	s_mov_b32 s61, exec_lo
	v_sub_nc_u32_e32 v48, v115, v48
	v_ashrrev_i32_e32 v65, 31, v55
	v_ashrrev_i32_e32 v49, 31, v48
	v_lshrrev_b32_e32 v65, 23, v65
	v_lshrrev_b32_e32 v49, 27, v49
	v_add_nc_u32_e32 v68, v55, v65
	v_add_nc_u32_e32 v49, v48, v49
	v_and_b32_e32 v65, 0xfffffe00, v68
	v_ashrrev_i32_e32 v68, 9, v68
	v_and_b32_e32 v66, 0xffffffe0, v49
	v_sub_nc_u32_e32 v67, v55, v65
	v_ashrrev_i32_e32 v69, 5, v49
	v_sub_nc_u32_e32 v66, v48, v66
	v_cmp_lt_i32_e32 vcc_lo, 15, v67
	v_lshlrev_b32_e32 v48, 4, v66
	v_add_co_ci_u32_e64 v68, null, 0, v68, vcc_lo
	v_lshl_add_u32 v49, v69, 9, v48
	v_sub_nc_u32_e32 v68, v68, v69
	v_sub_nc_u32_e32 v48, v55, v49
	v_cmpx_lt_i32_e32 15, v48
	s_cbranch_execz .LBB2_1101
; %bb.1098:                             ;   in Loop: Header=BB2_1017 Depth=2
	v_add_nc_u32_e32 v49, v49, v64
	s_mov_b32 s62, 0
	v_ashrrev_i32_e32 v55, 31, v49
	.p2align	6
.LBB2_1099:                             ;   Parent Loop BB2_47 Depth=1
                                        ;     Parent Loop BB2_1017 Depth=2
                                        ; =>    This Inner Loop Header: Depth=3
	v_add_co_u32 v40, s16, v8, v49
	v_add_co_ci_u32_e64 v41, null, v9, v55, s16
	v_sub_nc_u32_e32 v48, v48, v97
	v_add_co_u32 v44, s16, v10, v49
	global_load_dwordx4 v[40:43], v[40:41], off slc
	v_add_co_ci_u32_e64 v45, null, v11, v55, s16
	v_cmp_gt_i32_e64 s16, 16, v48
	v_add_co_u32 v49, s17, v49, v97
	v_sub_nc_u32_e32 v68, v68, v81
	v_add_co_ci_u32_e64 v55, null, 0, v55, s17
	s_or_b32 s62, s16, s62
	s_waitcnt vmcnt(0)
	global_store_dwordx4 v[44:45], v[40:43], off glc slc
	s_andn2_b32 exec_lo, exec_lo, s62
	s_cbranch_execnz .LBB2_1099
; %bb.1100:                             ;   in Loop: Header=BB2_1017 Depth=2
	s_or_b32 exec_lo, exec_lo, s62
.LBB2_1101:                             ;   in Loop: Header=BB2_1017 Depth=2
	s_or_b32 exec_lo, exec_lo, s61
	v_and_b32_e32 v119, 15, v54
	v_mov_b32_e32 v48, 0
	s_mov_b32 s17, 0
	s_mov_b32 s61, exec_lo
                                        ; implicit-def: $vgpr55
                                        ; implicit-def: $vgpr69
	v_cndmask_b32_e32 v49, v67, v119, vcc_lo
	v_cmpx_ne_u32_e32 0, v49
	s_cbranch_execz .LBB2_1103
; %bb.1102:                             ;   in Loop: Header=BB2_1017 Depth=2
	v_cmp_lt_i32_e64 s16, 0, v68
	s_mov_b32 s17, exec_lo
	v_cndmask_b32_e64 v48, 0, v81, s16
	v_sub_nc_u32_e32 v48, v48, v68
	v_lshl_add_u32 v55, v48, 5, v66
	v_sub_nc_u32_e32 v66, v67, v119
	v_ashrrev_i32_e32 v48, 31, v55
	v_cndmask_b32_e32 v66, 0, v66, vcc_lo
	v_lshrrev_b32_e32 v48, 27, v48
	v_add_nc_u32_e32 v67, v55, v48
	v_add3_u32 v48, v65, v64, v66
	v_ashrrev_i32_e32 v69, 5, v67
.LBB2_1103:                             ;   in Loop: Header=BB2_1017 Depth=2
	s_or_b32 exec_lo, exec_lo, s61
	s_and_b32 s16, s17, exec_lo
.LBB2_1104:                             ;   in Loop: Header=BB2_1017 Depth=2
	s_or_b32 exec_lo, exec_lo, s23
	s_and_saveexec_b32 s17, s16
	s_cbranch_execz .LBB2_1113
.LBB2_1105:                             ;   in Loop: Header=BB2_1017 Depth=2
	v_ashrrev_i32_e32 v64, 31, v49
	v_ashrrev_i32_e32 v65, 31, v55
	s_mov_b32 s16, exec_lo
	v_add_nc_u32_sdwa v64, v49, v64 dst_sel:DWORD dst_unused:UNUSED_PAD src0_sel:DWORD src1_sel:BYTE_3
	v_lshrrev_b32_e32 v65, 27, v65
	v_ashrrev_i32_e32 v66, 8, v64
	v_sub_nc_u32_e32 v64, v66, v69
	v_cmpx_lt_i32_e32 0, v64
	s_cbranch_execz .LBB2_1109
; %bb.1106:                             ;   in Loop: Header=BB2_1017 Depth=2
	v_add_nc_u32_e32 v67, v55, v65
	v_lshlrev_b32_e32 v68, 8, v69
	s_mov_b32 s23, 0
	v_and_b32_e32 v67, 0xffffffe0, v67
	v_sub_nc_u32_e32 v67, v55, v67
	v_add3_u32 v67, v48, v67, v68
	v_ashrrev_i32_e32 v68, 31, v67
.LBB2_1107:                             ;   Parent Loop BB2_47 Depth=1
                                        ;     Parent Loop BB2_1017 Depth=2
                                        ; =>    This Inner Loop Header: Depth=3
	v_add_co_u32 v40, vcc_lo, v67, v8
	v_add_co_ci_u32_e64 v41, null, v68, v9, vcc_lo
	v_sub_nc_u32_e32 v64, v64, v81
	s_clause 0x7
	flat_load_ubyte v69, v[40:41] slc
	flat_load_ubyte v119, v[40:41] offset:32 slc
	flat_load_ubyte v42, v[40:41] offset:64 slc
	;; [unrolled: 1-line block ×7, first 2 shown]
	v_add_co_u32 v40, vcc_lo, v67, v10
	v_add_co_ci_u32_e64 v41, null, v68, v11, vcc_lo
	v_add_co_u32 v8, vcc_lo, v8, v98
	v_add_co_ci_u32_e64 v9, null, 0, v9, vcc_lo
	;; [unrolled: 2-line block ×3, first 2 shown]
	v_cmp_gt_i32_e32 vcc_lo, 1, v64
	s_waitcnt vmcnt(7) lgkmcnt(7)
	flat_store_byte v[40:41], v69 glc slc
	s_waitcnt vmcnt(6) lgkmcnt(7)
	flat_store_byte v[40:41], v119 offset:32 glc slc
	s_waitcnt vmcnt(5) lgkmcnt(7)
	flat_store_byte v[40:41], v42 offset:64 glc slc
	;; [unrolled: 2-line block ×7, first 2 shown]
	s_or_b32 s23, vcc_lo, s23
	s_andn2_b32 exec_lo, exec_lo, s23
	s_cbranch_execnz .LBB2_1107
; %bb.1108:                             ;   in Loop: Header=BB2_1017 Depth=2
	s_or_b32 exec_lo, exec_lo, s23
.LBB2_1109:                             ;   in Loop: Header=BB2_1017 Depth=2
	s_or_b32 exec_lo, exec_lo, s16
	v_lshlrev_b32_e32 v8, 8, v66
	v_cmp_ne_u32_e32 vcc_lo, v49, v8
	s_and_b32 exec_lo, exec_lo, vcc_lo
	s_cbranch_execz .LBB2_1113
; %bb.1110:                             ;   in Loop: Header=BB2_1017 Depth=2
	v_add_nc_u32_e32 v9, v55, v65
	v_lshlrev_b32_e32 v10, 5, v64
	v_and_b32_e32 v9, 0xffffffe0, v9
	v_sub_nc_u32_e32 v9, v55, v9
	v_sub_nc_u32_e32 v9, v9, v10
	v_add_nc_u32_e32 v11, v8, v9
	v_sub_nc_u32_e32 v10, v49, v11
	v_cmp_lt_i32_e32 vcc_lo, 0, v10
	s_and_b32 exec_lo, exec_lo, vcc_lo
	s_cbranch_execz .LBB2_1113
; %bb.1111:                             ;   in Loop: Header=BB2_1017 Depth=2
	s_trap 2
	ds_read_b64 v[8:9], v0
	v_add_nc_u32_e32 v11, v11, v48
	s_mov_b32 s23, 0
	v_ashrrev_i32_e32 v48, 31, v11
	.p2align	6
.LBB2_1112:                             ;   Parent Loop BB2_47 Depth=1
                                        ;     Parent Loop BB2_1017 Depth=2
                                        ; =>    This Inner Loop Header: Depth=3
	s_waitcnt lgkmcnt(0)
	v_add_co_u32 v64, vcc_lo, v8, v11
	v_add_co_ci_u32_e64 v65, null, v9, v48, vcc_lo
	v_sub_nc_u32_e32 v10, v10, v82
	v_add_co_u32 v11, s16, v11, v82
	flat_load_ubyte v49, v[64:65] slc
	v_add_co_ci_u32_e64 v48, null, 0, v48, s16
	v_cmp_gt_i32_e32 vcc_lo, 1, v10
	s_or_b32 s23, vcc_lo, s23
	s_waitcnt vmcnt(0) lgkmcnt(0)
	flat_store_byte v[64:65], v49 glc slc
	s_andn2_b32 exec_lo, exec_lo, s23
	s_cbranch_execnz .LBB2_1112
.LBB2_1113:                             ;   in Loop: Header=BB2_1017 Depth=2
	s_or_b32 exec_lo, exec_lo, s17
	v_cmp_lt_i32_e64 s16, 0, v54
	s_and_saveexec_b32 s17, s6
	s_cbranch_execz .LBB2_1088
.LBB2_1114:                             ;   in Loop: Header=BB2_1017 Depth=2
	s_and_saveexec_b32 s23, s29
	s_xor_b32 s23, exec_lo, s23
	s_cbranch_execz .LBB2_1129
; %bb.1115:                             ;   in Loop: Header=BB2_1017 Depth=2
	s_and_saveexec_b32 s61, s11
	s_cbranch_execz .LBB2_1128
; %bb.1116:                             ;   in Loop: Header=BB2_1017 Depth=2
	s_mov_b32 s63, exec_lo
	s_mov_b32 s62, exec_lo
	v_mbcnt_lo_u32_b32 v8, s63, 0
	s_waitcnt vmcnt(0) lgkmcnt(0)
	s_waitcnt_vscnt null, 0x0
	buffer_gl1_inv
	buffer_gl0_inv
	v_cmpx_eq_u32_e32 0, v8
	s_cbranch_execz .LBB2_1118
; %bb.1117:                             ;   in Loop: Header=BB2_1017 Depth=2
	s_bcnt1_i32_b32 s63, s63
	v_mov_b32_e32 v9, v2
	v_mov_b32_e32 v8, s63
	ds_add_u64 v0, v[8:9]
	s_trap 2
.LBB2_1118:                             ;   in Loop: Header=BB2_1017 Depth=2
	s_or_b32 exec_lo, exec_lo, s62
	s_trap 2
	ds_read_b64 v[8:9], v0
	s_waitcnt lgkmcnt(0)
	buffer_gl0_inv
	v_add_co_u32 v12, vcc_lo, v12, v81
	v_add_co_ci_u32_e64 v13, null, 0, v13, vcc_lo
	s_mov_b32 s62, exec_lo
	v_cmpx_lt_u64_e64 v[8:9], v[12:13]
	s_cbranch_execz .LBB2_1127
; %bb.1119:                             ;   in Loop: Header=BB2_1017 Depth=2
	s_mov_b32 s63, 0
	s_mov_b32 s74, 0
                                        ; implicit-def: $sgpr72
                                        ; implicit-def: $sgpr73
	s_inst_prefetch 0x1
	s_branch .LBB2_1121
	.p2align	6
.LBB2_1120:                             ;   in Loop: Header=BB2_1121 Depth=3
	s_or_b32 exec_lo, exec_lo, s76
	s_and_b32 s75, exec_lo, s77
	s_or_b32 s63, s75, s63
	s_andn2_b32 s72, s72, exec_lo
	s_and_b32 s75, s73, exec_lo
	s_or_b32 s72, s72, s75
	s_andn2_b32 exec_lo, exec_lo, s63
	s_cbranch_execz .LBB2_1125
.LBB2_1121:                             ;   Parent Loop BB2_47 Depth=1
                                        ;     Parent Loop BB2_1017 Depth=2
                                        ; =>    This Inner Loop Header: Depth=3
	s_add_i32 s74, s74, 1
	s_cmpk_lg_i32 s74, 0x2710
	s_cselect_b32 s75, -1, 0
	s_and_b32 vcc_lo, exec_lo, s75
	s_cbranch_vccz .LBB2_1123
; %bb.1122:                             ;   in Loop: Header=BB2_1121 Depth=3
	s_mov_b32 s77, -1
	s_or_b32 s73, s73, exec_lo
	s_and_saveexec_b32 s76, s75
	s_cbranch_execz .LBB2_1120
	s_branch .LBB2_1124
	.p2align	6
.LBB2_1123:                             ;   in Loop: Header=BB2_1121 Depth=3
	s_trap 2
	ds_read_b64 v[8:9], v0
	s_andn2_b32 s75, s75, exec_lo
	s_mov_b32 s74, 0
	s_waitcnt lgkmcnt(0)
	flat_load_dword v8, v[8:9] glc dlc
	s_waitcnt vmcnt(0) lgkmcnt(0)
	buffer_gl1_inv
	buffer_gl0_inv
	v_cmp_eq_u32_e32 vcc_lo, 0, v8
	s_and_b32 s76, vcc_lo, exec_lo
	s_or_b32 s75, s75, s76
	s_mov_b32 s77, -1
	s_or_b32 s73, s73, exec_lo
	s_and_saveexec_b32 s76, s75
	s_cbranch_execz .LBB2_1120
.LBB2_1124:                             ;   in Loop: Header=BB2_1121 Depth=3
	s_sleep 1
	s_trap 2
	ds_read_b64 v[8:9], v0
	s_waitcnt lgkmcnt(0)
	buffer_gl0_inv
	s_andn2_b32 s73, s73, exec_lo
	v_cmp_ge_u64_e32 vcc_lo, v[8:9], v[12:13]
	s_orn2_b32 s77, vcc_lo, exec_lo
	s_branch .LBB2_1120
.LBB2_1125:                             ;   in Loop: Header=BB2_1017 Depth=2
	s_inst_prefetch 0x2
	s_or_b32 exec_lo, exec_lo, s63
	s_and_saveexec_b32 s63, s72
	s_xor_b32 s63, exec_lo, s63
	s_cbranch_execz .LBB2_1127
; %bb.1126:                             ;   in Loop: Header=BB2_1017 Depth=2
	ds_write_b32 v0, v84
	s_trap 2
.LBB2_1127:                             ;   in Loop: Header=BB2_1017 Depth=2
	s_or_b32 exec_lo, exec_lo, s62
	;;#ASMSTART
	s_wakeup
	;;#ASMEND
.LBB2_1128:                             ;   in Loop: Header=BB2_1017 Depth=2
	s_or_b32 exec_lo, exec_lo, s61
.LBB2_1129:                             ;   in Loop: Header=BB2_1017 Depth=2
	s_andn2_saveexec_b32 s23, s23
	s_cbranch_execz .LBB2_1131
; %bb.1130:                             ;   in Loop: Header=BB2_1017 Depth=2
	s_waitcnt vmcnt(0) lgkmcnt(0)
	s_waitcnt_vscnt null, 0x0
	buffer_gl1_inv
	buffer_gl0_inv
	s_barrier
.LBB2_1131:                             ;   in Loop: Header=BB2_1017 Depth=2
	s_or_b32 exec_lo, exec_lo, s23
	s_or_b32 exec_lo, exec_lo, s17
	s_and_saveexec_b32 s17, s12
	s_xor_b32 s17, exec_lo, s17
	s_cbranch_execnz .LBB2_1089
.LBB2_1132:                             ;   in Loop: Header=BB2_1017 Depth=2
	s_andn2_saveexec_b32 s16, s17
	s_cbranch_execz .LBB2_1151
.LBB2_1133:                             ;   in Loop: Header=BB2_1017 Depth=2
	s_and_saveexec_b32 s17, s29
	s_xor_b32 s17, exec_lo, s17
	s_cbranch_execz .LBB2_1148
; %bb.1134:                             ;   in Loop: Header=BB2_1017 Depth=2
	s_and_saveexec_b32 s23, s11
	s_cbranch_execz .LBB2_1147
; %bb.1135:                             ;   in Loop: Header=BB2_1017 Depth=2
	s_mov_b32 s62, exec_lo
	s_mov_b32 s61, exec_lo
	v_mbcnt_lo_u32_b32 v8, s62, 0
	;;#ASMSTART
	s_waitcnt lgkmcnt(0) vmcnt(0)
	;;#ASMEND
	v_cmpx_eq_u32_e32 0, v8
	s_cbranch_execz .LBB2_1137
; %bb.1136:                             ;   in Loop: Header=BB2_1017 Depth=2
	s_bcnt1_i32_b32 s62, s62
	v_mov_b32_e32 v9, v2
	v_mov_b32_e32 v8, s62
	s_waitcnt vmcnt(0) lgkmcnt(0)
	s_waitcnt_vscnt null, 0x0
	ds_add_u64 v0, v[8:9]
	s_trap 2
.LBB2_1137:                             ;   in Loop: Header=BB2_1017 Depth=2
	s_or_b32 exec_lo, exec_lo, s61
	s_trap 2
	ds_read_b64 v[8:9], v0
	s_waitcnt vmcnt(0) lgkmcnt(0)
	buffer_gl0_inv
	v_add_co_u32 v12, vcc_lo, v12, v81
	v_add_co_ci_u32_e64 v13, null, 0, v13, vcc_lo
	s_mov_b32 s61, exec_lo
	v_cmpx_lt_u64_e64 v[8:9], v[12:13]
	s_cbranch_execz .LBB2_1146
; %bb.1138:                             ;   in Loop: Header=BB2_1017 Depth=2
	s_mov_b32 s62, 0
	s_mov_b32 s73, 0
                                        ; implicit-def: $sgpr63
                                        ; implicit-def: $sgpr72
	s_inst_prefetch 0x1
	s_branch .LBB2_1140
	.p2align	6
.LBB2_1139:                             ;   in Loop: Header=BB2_1140 Depth=3
	s_or_b32 exec_lo, exec_lo, s75
	s_and_b32 s74, exec_lo, s76
	s_or_b32 s62, s74, s62
	s_andn2_b32 s63, s63, exec_lo
	s_and_b32 s74, s72, exec_lo
	s_or_b32 s63, s63, s74
	s_andn2_b32 exec_lo, exec_lo, s62
	s_cbranch_execz .LBB2_1144
.LBB2_1140:                             ;   Parent Loop BB2_47 Depth=1
                                        ;     Parent Loop BB2_1017 Depth=2
                                        ; =>    This Inner Loop Header: Depth=3
	s_add_i32 s73, s73, 1
	s_cmpk_lg_i32 s73, 0x2710
	s_cselect_b32 s74, -1, 0
	s_and_b32 vcc_lo, exec_lo, s74
	s_cbranch_vccz .LBB2_1142
; %bb.1141:                             ;   in Loop: Header=BB2_1140 Depth=3
	s_mov_b32 s76, -1
	s_or_b32 s72, s72, exec_lo
	s_and_saveexec_b32 s75, s74
	s_cbranch_execz .LBB2_1139
	s_branch .LBB2_1143
	.p2align	6
.LBB2_1142:                             ;   in Loop: Header=BB2_1140 Depth=3
	s_trap 2
	ds_read_b64 v[8:9], v0
	s_andn2_b32 s74, s74, exec_lo
	s_mov_b32 s73, 0
	s_waitcnt lgkmcnt(0)
	s_waitcnt_vscnt null, 0x0
	flat_load_dword v8, v[8:9] glc dlc
	s_waitcnt vmcnt(0) lgkmcnt(0)
	buffer_gl1_inv
	buffer_gl0_inv
	v_cmp_eq_u32_e32 vcc_lo, 0, v8
	s_and_b32 s75, vcc_lo, exec_lo
	s_or_b32 s74, s74, s75
	s_mov_b32 s76, -1
	s_or_b32 s72, s72, exec_lo
	s_and_saveexec_b32 s75, s74
	s_cbranch_execz .LBB2_1139
.LBB2_1143:                             ;   in Loop: Header=BB2_1140 Depth=3
	s_sleep 1
	s_trap 2
	ds_read_b64 v[8:9], v0
	s_waitcnt lgkmcnt(0)
	buffer_gl0_inv
	s_andn2_b32 s72, s72, exec_lo
	v_cmp_ge_u64_e32 vcc_lo, v[8:9], v[12:13]
	s_orn2_b32 s76, vcc_lo, exec_lo
	s_branch .LBB2_1139
.LBB2_1144:                             ;   in Loop: Header=BB2_1017 Depth=2
	s_inst_prefetch 0x2
	s_or_b32 exec_lo, exec_lo, s62
	s_and_saveexec_b32 s62, s63
	s_xor_b32 s62, exec_lo, s62
	s_cbranch_execz .LBB2_1146
; %bb.1145:                             ;   in Loop: Header=BB2_1017 Depth=2
	ds_write_b32 v0, v84
	s_trap 2
.LBB2_1146:                             ;   in Loop: Header=BB2_1017 Depth=2
	s_or_b32 exec_lo, exec_lo, s61
	;;#ASMSTART
	s_wakeup
	;;#ASMEND
.LBB2_1147:                             ;   in Loop: Header=BB2_1017 Depth=2
	s_or_b32 exec_lo, exec_lo, s23
.LBB2_1148:                             ;   in Loop: Header=BB2_1017 Depth=2
	s_andn2_saveexec_b32 s17, s17
	s_cbranch_execz .LBB2_1150
; %bb.1149:                             ;   in Loop: Header=BB2_1017 Depth=2
	;;#ASMSTART
	s_waitcnt lgkmcnt(0) vmcnt(0)
	;;#ASMEND
	s_barrier
.LBB2_1150:                             ;   in Loop: Header=BB2_1017 Depth=2
	s_or_b32 exec_lo, exec_lo, s17
.LBB2_1151:                             ;   in Loop: Header=BB2_1017 Depth=2
	s_or_b32 exec_lo, exec_lo, s16
	v_and_b32_e32 v8, 32, v71
	s_mov_b32 s16, exec_lo
	v_cmpx_ne_u32_e32 0, v8
	s_cbranch_execz .LBB2_1016
; %bb.1152:                             ;   in Loop: Header=BB2_1017 Depth=2
	v_add_co_u32 v38, vcc_lo, v38, 2
	v_add_co_ci_u32_e64 v39, null, 0, v39, vcc_lo
	s_waitcnt vmcnt(0) lgkmcnt(0)
	s_waitcnt_vscnt null, 0x0
	flat_store_dwordx2 v[20:21], v[38:39]
	s_branch .LBB2_1016
.LBB2_1153:                             ;   in Loop: Header=BB2_47 Depth=1
	s_or_b32 exec_lo, exec_lo, s19
.LBB2_1154:                             ;   in Loop: Header=BB2_47 Depth=1
	s_or_b32 exec_lo, exec_lo, s18
	s_mov_b32 s17, exec_lo
	v_cmpx_gt_i32_e32 2, v10
	s_cbranch_execz .LBB2_46
; %bb.1155:                             ;   in Loop: Header=BB2_47 Depth=1
	v_cmp_eq_u32_e64 s19, 0, v10
	s_mov_b32 s18, 0
	s_branch .LBB2_1157
.LBB2_1156:                             ;   in Loop: Header=BB2_1157 Depth=2
	s_or_b32 exec_lo, exec_lo, s16
	v_add_nc_u32_e32 v51, v50, v51
	s_mov_b32 s19, 0
	s_andn2_b32 exec_lo, exec_lo, s18
	s_cbranch_execz .LBB2_45
.LBB2_1157:                             ;   Parent Loop BB2_47 Depth=1
                                        ; =>  This Loop Header: Depth=2
                                        ;       Child Loop BB2_1163 Depth 3
                                        ;       Child Loop BB2_1187 Depth 3
	;; [unrolled: 1-line block ×3, first 2 shown]
	v_and_b32_e32 v8, 4, v71
	s_mov_b32 s21, exec_lo
	v_cmpx_ne_u32_e32 0, v8
	s_cbranch_execz .LBB2_1179
; %bb.1158:                             ;   in Loop: Header=BB2_1157 Depth=2
	v_add_co_u32 v8, vcc_lo, v38, 2
	v_add_co_ci_u32_e64 v9, null, 0, v39, vcc_lo
	s_mov_b32 s22, exec_lo
	s_waitcnt vmcnt(0) lgkmcnt(1)
	v_cmpx_lt_u64_e64 v[26:27], v[8:9]
	s_cbranch_execz .LBB2_1170
; %bb.1159:                             ;   in Loop: Header=BB2_1157 Depth=2
	v_and_b32_e32 v10, 64, v71
	s_mov_b32 s23, 0
	s_mov_b32 s72, 0
                                        ; implicit-def: $sgpr61
                                        ; implicit-def: $sgpr62
                                        ; implicit-def: $sgpr63
	v_cmp_eq_u32_e32 vcc_lo, 0, v10
	s_branch .LBB2_1163
.LBB2_1160:                             ;   in Loop: Header=BB2_1163 Depth=3
	s_waitcnt vmcnt(0) lgkmcnt(0)
	v_cmp_ge_u64_e64 s16, v[26:27], v[8:9]
	s_or_b32 s75, s75, exec_lo
	s_orn2_b32 s74, s16, exec_lo
.LBB2_1161:                             ;   in Loop: Header=BB2_1163 Depth=3
	s_or_b32 exec_lo, exec_lo, s77
	s_andn2_b32 s16, s63, exec_lo
	s_and_b32 s63, s75, exec_lo
	s_andn2_b32 s62, s62, exec_lo
	s_and_b32 s74, s74, exec_lo
	s_or_b32 s63, s16, s63
	s_or_b32 s62, s62, s74
.LBB2_1162:                             ;   in Loop: Header=BB2_1163 Depth=3
	s_or_b32 exec_lo, exec_lo, s73
	s_and_b32 s16, exec_lo, s62
	s_or_b32 s23, s16, s23
	s_andn2_b32 s16, s61, exec_lo
	s_and_b32 s61, s63, exec_lo
	s_or_b32 s61, s16, s61
	s_andn2_b32 exec_lo, exec_lo, s23
	s_cbranch_execz .LBB2_1167
.LBB2_1163:                             ;   Parent Loop BB2_47 Depth=1
                                        ;     Parent Loop BB2_1157 Depth=2
                                        ; =>    This Inner Loop Header: Depth=3
	s_sleep 1
	s_waitcnt vmcnt(0) lgkmcnt(0)
	flat_load_dwordx2 v[26:27], v[20:21] glc dlc
	s_or_b32 s63, s63, exec_lo
	s_or_b32 s62, s62, exec_lo
                                        ; implicit-def: $vgpr10
	s_and_saveexec_b32 s73, vcc_lo
	s_cbranch_execz .LBB2_1162
; %bb.1164:                             ;   in Loop: Header=BB2_1163 Depth=3
	s_cmpk_lt_i32 s72, 0x270f
	s_mov_b32 s74, -1
	s_cselect_b32 s76, -1, 0
	s_cmpk_gt_i32 s72, 0x270e
	s_cbranch_scc0 .LBB2_1166
; %bb.1165:                             ;   in Loop: Header=BB2_1163 Depth=3
	s_trap 2
	ds_read_b64 v[10:11], v0
	s_andn2_b32 s72, s76, exec_lo
	s_mov_b32 s75, 0
	s_waitcnt vmcnt(0) lgkmcnt(0)
	s_waitcnt_vscnt null, 0x0
	flat_load_dword v10, v[10:11] glc dlc
	s_waitcnt vmcnt(0) lgkmcnt(0)
	buffer_gl1_inv
	buffer_gl0_inv
	v_cmp_eq_u32_e64 s16, 0, v10
	s_and_b32 s16, s16, exec_lo
	s_or_b32 s76, s72, s16
	s_mov_b32 s72, 0
	s_and_saveexec_b32 s77, s76
	s_cbranch_execz .LBB2_1161
	s_branch .LBB2_1160
.LBB2_1166:                             ;   in Loop: Header=BB2_1163 Depth=3
	s_add_i32 s72, s72, 1
	s_mov_b32 s75, -1
                                        ; implicit-def: $vgpr10
	s_and_saveexec_b32 s77, s76
	s_cbranch_execz .LBB2_1161
	s_branch .LBB2_1160
.LBB2_1167:                             ;   in Loop: Header=BB2_1157 Depth=2
	s_or_b32 exec_lo, exec_lo, s23
	s_xor_b32 s16, s61, -1
	s_and_saveexec_b32 s23, s16
	s_xor_b32 s16, exec_lo, s23
	s_cbranch_execz .LBB2_1169
; %bb.1168:                             ;   in Loop: Header=BB2_1157 Depth=2
	v_or_b32_e32 v71, 64, v71
	s_waitcnt vmcnt(0) lgkmcnt(0)
	s_waitcnt_vscnt null, 0x0
	ds_write_b32 v0, v10
	s_trap 2
.LBB2_1169:                             ;   in Loop: Header=BB2_1157 Depth=2
	s_or_b32 exec_lo, exec_lo, s16
.LBB2_1170:                             ;   in Loop: Header=BB2_1157 Depth=2
	s_or_b32 exec_lo, exec_lo, s22
	v_and_b32_e32 v10, 0x100, v71
	v_and_b32_e32 v48, 7, v38
	s_mov_b32 s16, -1
	;;#ASMSTART
	s_wakeup
	;;#ASMEND
	v_cmp_ne_u32_e32 vcc_lo, 0, v10
                                        ; implicit-def: $vgpr10_vgpr11
	s_and_saveexec_b32 s22, vcc_lo
	s_cbranch_execz .LBB2_1174
; %bb.1171:                             ;   in Loop: Header=BB2_1157 Depth=2
	v_mad_u64_u32 v[38:39], null, v48, 24, v[6:7]
	flat_load_dword v10, v[38:39]
	s_waitcnt vmcnt(0) lgkmcnt(0)
	v_cmp_eq_u32_e64 s16, 1, v10
	v_cmp_ne_u32_e32 vcc_lo, 1, v10
                                        ; implicit-def: $vgpr10_vgpr11
	s_and_saveexec_b32 s23, s16
	s_cbranch_execz .LBB2_1173
; %bb.1172:                             ;   in Loop: Header=BB2_1157 Depth=2
	flat_load_dword v10, v[38:39] offset:4 glc dlc
	s_waitcnt vmcnt(0) lgkmcnt(0)
	v_ashrrev_i32_e32 v11, 31, v10
.LBB2_1173:                             ;   in Loop: Header=BB2_1157 Depth=2
	s_or_b32 exec_lo, exec_lo, s23
	s_orn2_b32 s16, vcc_lo, exec_lo
.LBB2_1174:                             ;   in Loop: Header=BB2_1157 Depth=2
	s_or_b32 exec_lo, exec_lo, s22
	s_and_saveexec_b32 s22, s16
; %bb.1175:                             ;   in Loop: Header=BB2_1157 Depth=2
	v_mad_i64_i32 v[10:11], null, v48, v80, 0
; %bb.1176:                             ;   in Loop: Header=BB2_1157 Depth=2
	s_or_b32 exec_lo, exec_lo, s22
	v_add_co_u32 v10, vcc_lo, v22, v10
	v_and_b32_e32 v38, 0x2000, v71
	v_add_co_ci_u32_e64 v11, null, v23, v11, vcc_lo
	s_mov_b32 s16, exec_lo
	ds_write_b64 v0, v[10:11] offset:720
	v_cmpx_ne_u32_e32 0, v38
	s_cbranch_execz .LBB2_1178
; %bb.1177:                             ;   in Loop: Header=BB2_1157 Depth=2
	ds_read_b64 v[10:11], v0 offset:872
	s_waitcnt lgkmcnt(0)
	v_add_co_u32 v10, vcc_lo, v10, 1
	v_add_co_ci_u32_e64 v11, null, 0, v11, vcc_lo
	ds_write_b64 v0, v[10:11] offset:872
.LBB2_1178:                             ;   in Loop: Header=BB2_1157 Depth=2
	s_or_b32 exec_lo, exec_lo, s16
	v_mov_b32_e32 v39, v9
	v_mov_b32_e32 v38, v8
.LBB2_1179:                             ;   in Loop: Header=BB2_1157 Depth=2
	s_or_b32 exec_lo, exec_lo, s21
	s_xor_b32 s16, s19, -1
	s_and_b32 s16, exec_lo, s16
	s_or_b32 s18, s16, s18
	s_and_saveexec_b32 s16, s6
	s_cbranch_execz .LBB2_1198
; %bb.1180:                             ;   in Loop: Header=BB2_1157 Depth=2
	s_and_saveexec_b32 s19, s29
	s_xor_b32 s19, exec_lo, s19
	s_cbranch_execz .LBB2_1195
; %bb.1181:                             ;   in Loop: Header=BB2_1157 Depth=2
	s_and_saveexec_b32 s21, s11
	s_cbranch_execz .LBB2_1194
; %bb.1182:                             ;   in Loop: Header=BB2_1157 Depth=2
	s_mov_b32 s23, exec_lo
	s_mov_b32 s22, exec_lo
	v_mbcnt_lo_u32_b32 v8, s23, 0
	s_waitcnt vmcnt(0) lgkmcnt(0)
	s_waitcnt_vscnt null, 0x0
	buffer_gl1_inv
	buffer_gl0_inv
	v_cmpx_eq_u32_e32 0, v8
	s_cbranch_execz .LBB2_1184
; %bb.1183:                             ;   in Loop: Header=BB2_1157 Depth=2
	s_bcnt1_i32_b32 s23, s23
	v_mov_b32_e32 v9, v2
	v_mov_b32_e32 v8, s23
	ds_add_u64 v0, v[8:9]
	s_trap 2
.LBB2_1184:                             ;   in Loop: Header=BB2_1157 Depth=2
	s_or_b32 exec_lo, exec_lo, s22
	s_trap 2
	ds_read_b64 v[8:9], v0
	s_waitcnt lgkmcnt(0)
	buffer_gl0_inv
	v_add_co_u32 v12, vcc_lo, v12, v81
	v_add_co_ci_u32_e64 v13, null, 0, v13, vcc_lo
	s_mov_b32 s22, exec_lo
	v_cmpx_lt_u64_e64 v[8:9], v[12:13]
	s_cbranch_execz .LBB2_1193
; %bb.1185:                             ;   in Loop: Header=BB2_1157 Depth=2
	s_mov_b32 s23, 0
	s_mov_b32 s63, 0
                                        ; implicit-def: $sgpr61
                                        ; implicit-def: $sgpr62
	s_inst_prefetch 0x1
	s_branch .LBB2_1187
	.p2align	6
.LBB2_1186:                             ;   in Loop: Header=BB2_1187 Depth=3
	s_or_b32 exec_lo, exec_lo, s73
	s_and_b32 s72, exec_lo, s74
	s_or_b32 s23, s72, s23
	s_andn2_b32 s61, s61, exec_lo
	s_and_b32 s72, s62, exec_lo
	s_or_b32 s61, s61, s72
	s_andn2_b32 exec_lo, exec_lo, s23
	s_cbranch_execz .LBB2_1191
.LBB2_1187:                             ;   Parent Loop BB2_47 Depth=1
                                        ;     Parent Loop BB2_1157 Depth=2
                                        ; =>    This Inner Loop Header: Depth=3
	s_add_i32 s63, s63, 1
	s_cmpk_lg_i32 s63, 0x2710
	s_cselect_b32 s72, -1, 0
	s_and_b32 vcc_lo, exec_lo, s72
	s_cbranch_vccz .LBB2_1189
; %bb.1188:                             ;   in Loop: Header=BB2_1187 Depth=3
	s_mov_b32 s74, -1
	s_or_b32 s62, s62, exec_lo
	s_and_saveexec_b32 s73, s72
	s_cbranch_execz .LBB2_1186
	s_branch .LBB2_1190
	.p2align	6
.LBB2_1189:                             ;   in Loop: Header=BB2_1187 Depth=3
	s_trap 2
	ds_read_b64 v[8:9], v0
	s_andn2_b32 s72, s72, exec_lo
	s_mov_b32 s63, 0
	s_waitcnt lgkmcnt(0)
	flat_load_dword v8, v[8:9] glc dlc
	s_waitcnt vmcnt(0) lgkmcnt(0)
	buffer_gl1_inv
	buffer_gl0_inv
	v_cmp_eq_u32_e32 vcc_lo, 0, v8
	s_and_b32 s73, vcc_lo, exec_lo
	s_or_b32 s72, s72, s73
	s_mov_b32 s74, -1
	s_or_b32 s62, s62, exec_lo
	s_and_saveexec_b32 s73, s72
	s_cbranch_execz .LBB2_1186
.LBB2_1190:                             ;   in Loop: Header=BB2_1187 Depth=3
	s_sleep 1
	s_trap 2
	ds_read_b64 v[8:9], v0
	s_waitcnt lgkmcnt(0)
	buffer_gl0_inv
	s_andn2_b32 s62, s62, exec_lo
	v_cmp_ge_u64_e32 vcc_lo, v[8:9], v[12:13]
	s_orn2_b32 s74, vcc_lo, exec_lo
	s_branch .LBB2_1186
.LBB2_1191:                             ;   in Loop: Header=BB2_1157 Depth=2
	s_inst_prefetch 0x2
	s_or_b32 exec_lo, exec_lo, s23
	s_and_saveexec_b32 s23, s61
	s_xor_b32 s23, exec_lo, s23
	s_cbranch_execz .LBB2_1193
; %bb.1192:                             ;   in Loop: Header=BB2_1157 Depth=2
	ds_write_b32 v0, v84
	s_trap 2
.LBB2_1193:                             ;   in Loop: Header=BB2_1157 Depth=2
	s_or_b32 exec_lo, exec_lo, s22
	;;#ASMSTART
	s_wakeup
	;;#ASMEND
.LBB2_1194:                             ;   in Loop: Header=BB2_1157 Depth=2
	s_or_b32 exec_lo, exec_lo, s21
.LBB2_1195:                             ;   in Loop: Header=BB2_1157 Depth=2
	s_andn2_saveexec_b32 s19, s19
	s_cbranch_execz .LBB2_1197
; %bb.1196:                             ;   in Loop: Header=BB2_1157 Depth=2
	s_waitcnt vmcnt(0) lgkmcnt(0)
	s_waitcnt_vscnt null, 0x0
	buffer_gl1_inv
	buffer_gl0_inv
	s_barrier
.LBB2_1197:                             ;   in Loop: Header=BB2_1157 Depth=2
	s_or_b32 exec_lo, exec_lo, s19
.LBB2_1198:                             ;   in Loop: Header=BB2_1157 Depth=2
	s_or_b32 exec_lo, exec_lo, s16
	v_sub_nc_u32_e32 v8, v3, v51
	v_min_i32_e32 v50, v50, v8
	s_and_saveexec_b32 s16, s12
	s_xor_b32 s19, exec_lo, s16
	s_cbranch_execz .LBB2_1202
; %bb.1199:                             ;   in Loop: Header=BB2_1157 Depth=2
	s_trap 2
	ds_read_b32 v8, v0
	v_cmp_lt_i32_e32 vcc_lo, 0, v50
	s_waitcnt lgkmcnt(0)
	v_readfirstlane_b32 s16, v8
	v_and_b32_e32 v8, 16, v71
	s_cmp_eq_u32 s16, 0
	v_cmp_ne_u32_e64 s16, 0, v8
	s_cselect_b32 s21, -1, 0
	s_and_b32 s21, vcc_lo, s21
	s_and_b32 s21, s16, s21
	s_and_saveexec_b32 s16, s21
	s_cbranch_execz .LBB2_1201
; %bb.1200:                             ;   in Loop: Header=BB2_1157 Depth=2
	s_waitcnt vmcnt(0)
	s_waitcnt_vscnt null, 0x0
	buffer_gl1_inv
	buffer_gl0_inv
.LBB2_1201:                             ;   in Loop: Header=BB2_1157 Depth=2
	s_or_b32 exec_lo, exec_lo, s16
.LBB2_1202:                             ;   in Loop: Header=BB2_1157 Depth=2
	s_andn2_saveexec_b32 s16, s19
	s_cbranch_execz .LBB2_1221
; %bb.1203:                             ;   in Loop: Header=BB2_1157 Depth=2
	s_and_saveexec_b32 s19, s29
	s_xor_b32 s19, exec_lo, s19
	s_cbranch_execz .LBB2_1218
; %bb.1204:                             ;   in Loop: Header=BB2_1157 Depth=2
	s_and_saveexec_b32 s21, s11
	s_cbranch_execz .LBB2_1217
; %bb.1205:                             ;   in Loop: Header=BB2_1157 Depth=2
	s_mov_b32 s23, exec_lo
	s_mov_b32 s22, exec_lo
	v_mbcnt_lo_u32_b32 v8, s23, 0
	;;#ASMSTART
	s_waitcnt lgkmcnt(0) vmcnt(0)
	;;#ASMEND
	v_cmpx_eq_u32_e32 0, v8
	s_cbranch_execz .LBB2_1207
; %bb.1206:                             ;   in Loop: Header=BB2_1157 Depth=2
	s_bcnt1_i32_b32 s23, s23
	v_mov_b32_e32 v9, v2
	v_mov_b32_e32 v8, s23
	s_waitcnt vmcnt(0) lgkmcnt(0)
	s_waitcnt_vscnt null, 0x0
	ds_add_u64 v0, v[8:9]
	s_trap 2
.LBB2_1207:                             ;   in Loop: Header=BB2_1157 Depth=2
	s_or_b32 exec_lo, exec_lo, s22
	s_trap 2
	ds_read_b64 v[8:9], v0
	s_waitcnt vmcnt(0) lgkmcnt(0)
	buffer_gl0_inv
	v_add_co_u32 v12, vcc_lo, v12, v81
	v_add_co_ci_u32_e64 v13, null, 0, v13, vcc_lo
	s_mov_b32 s22, exec_lo
	v_cmpx_lt_u64_e64 v[8:9], v[12:13]
	s_cbranch_execz .LBB2_1216
; %bb.1208:                             ;   in Loop: Header=BB2_1157 Depth=2
	s_mov_b32 s23, 0
	s_mov_b32 s63, 0
                                        ; implicit-def: $sgpr61
                                        ; implicit-def: $sgpr62
	s_inst_prefetch 0x1
	s_branch .LBB2_1210
	.p2align	6
.LBB2_1209:                             ;   in Loop: Header=BB2_1210 Depth=3
	s_or_b32 exec_lo, exec_lo, s73
	s_and_b32 s72, exec_lo, s74
	s_or_b32 s23, s72, s23
	s_andn2_b32 s61, s61, exec_lo
	s_and_b32 s72, s62, exec_lo
	s_or_b32 s61, s61, s72
	s_andn2_b32 exec_lo, exec_lo, s23
	s_cbranch_execz .LBB2_1214
.LBB2_1210:                             ;   Parent Loop BB2_47 Depth=1
                                        ;     Parent Loop BB2_1157 Depth=2
                                        ; =>    This Inner Loop Header: Depth=3
	s_add_i32 s63, s63, 1
	s_cmpk_lg_i32 s63, 0x2710
	s_cselect_b32 s72, -1, 0
	s_and_b32 vcc_lo, exec_lo, s72
	s_cbranch_vccz .LBB2_1212
; %bb.1211:                             ;   in Loop: Header=BB2_1210 Depth=3
	s_mov_b32 s74, -1
	s_or_b32 s62, s62, exec_lo
	s_and_saveexec_b32 s73, s72
	s_cbranch_execz .LBB2_1209
	s_branch .LBB2_1213
	.p2align	6
.LBB2_1212:                             ;   in Loop: Header=BB2_1210 Depth=3
	s_trap 2
	ds_read_b64 v[8:9], v0
	s_andn2_b32 s72, s72, exec_lo
	s_mov_b32 s63, 0
	s_waitcnt lgkmcnt(0)
	s_waitcnt_vscnt null, 0x0
	flat_load_dword v8, v[8:9] glc dlc
	s_waitcnt vmcnt(0) lgkmcnt(0)
	buffer_gl1_inv
	buffer_gl0_inv
	v_cmp_eq_u32_e32 vcc_lo, 0, v8
	s_and_b32 s73, vcc_lo, exec_lo
	s_or_b32 s72, s72, s73
	s_mov_b32 s74, -1
	s_or_b32 s62, s62, exec_lo
	s_and_saveexec_b32 s73, s72
	s_cbranch_execz .LBB2_1209
.LBB2_1213:                             ;   in Loop: Header=BB2_1210 Depth=3
	s_sleep 1
	s_trap 2
	ds_read_b64 v[8:9], v0
	s_waitcnt lgkmcnt(0)
	buffer_gl0_inv
	s_andn2_b32 s62, s62, exec_lo
	v_cmp_ge_u64_e32 vcc_lo, v[8:9], v[12:13]
	s_orn2_b32 s74, vcc_lo, exec_lo
	s_branch .LBB2_1209
.LBB2_1214:                             ;   in Loop: Header=BB2_1157 Depth=2
	s_inst_prefetch 0x2
	s_or_b32 exec_lo, exec_lo, s23
	s_and_saveexec_b32 s23, s61
	s_xor_b32 s23, exec_lo, s23
	s_cbranch_execz .LBB2_1216
; %bb.1215:                             ;   in Loop: Header=BB2_1157 Depth=2
	ds_write_b32 v0, v84
	s_trap 2
.LBB2_1216:                             ;   in Loop: Header=BB2_1157 Depth=2
	s_or_b32 exec_lo, exec_lo, s22
	;;#ASMSTART
	s_wakeup
	;;#ASMEND
.LBB2_1217:                             ;   in Loop: Header=BB2_1157 Depth=2
	s_or_b32 exec_lo, exec_lo, s21
.LBB2_1218:                             ;   in Loop: Header=BB2_1157 Depth=2
	s_andn2_saveexec_b32 s19, s19
	s_cbranch_execz .LBB2_1220
; %bb.1219:                             ;   in Loop: Header=BB2_1157 Depth=2
	;;#ASMSTART
	s_waitcnt lgkmcnt(0) vmcnt(0)
	;;#ASMEND
	s_barrier
.LBB2_1220:                             ;   in Loop: Header=BB2_1157 Depth=2
	s_or_b32 exec_lo, exec_lo, s19
.LBB2_1221:                             ;   in Loop: Header=BB2_1157 Depth=2
	s_or_b32 exec_lo, exec_lo, s16
	v_and_b32_e32 v8, 32, v71
	s_mov_b32 s16, exec_lo
	v_cmpx_ne_u32_e32 0, v8
	s_cbranch_execz .LBB2_1156
; %bb.1222:                             ;   in Loop: Header=BB2_1157 Depth=2
	v_add_co_u32 v38, vcc_lo, v38, 2
	v_add_co_ci_u32_e64 v39, null, 0, v39, vcc_lo
	s_waitcnt vmcnt(0) lgkmcnt(0)
	s_waitcnt_vscnt null, 0x0
	flat_store_dwordx2 v[20:21], v[38:39]
	s_branch .LBB2_1156
.LBB2_1223:
	s_or_b32 exec_lo, exec_lo, s27
.LBB2_1224:
	s_or_b32 exec_lo, exec_lo, s26
	v_and_b32_e32 v0, 0x800, v71
	s_mov_b32 s5, exec_lo
	v_cmpx_eq_u32_e32 0, v0
	s_cbranch_execz .LBB2_1257
; %bb.1225:
	v_and_b32_e32 v0, 48, v71
	s_mov_b32 s4, exec_lo
	v_cmpx_ne_u32_e32 0, v0
	s_cbranch_execz .LBB2_1227
; %bb.1226:
	flat_store_dwordx2 v[18:19], v[38:39] offset:104
.LBB2_1227:
	s_or_b32 exec_lo, exec_lo, s4
	v_and_b32_e32 v0, 0x88, v71
	s_mov_b32 s6, exec_lo
	v_cmpx_eq_u32_e32 0x88, v0
	s_cbranch_execz .LBB2_1237
; %bb.1228:
	v_add_nc_u32_e32 v0, 6, v38
	s_mov_b32 s7, 0
	v_and_b32_e32 v0, 7, v0
	v_mad_u64_u32 v[2:3], null, v0, 24, v[6:7]
	v_and_b32_e32 v0, 64, v71
	v_cmp_eq_u32_e64 s4, 0, v0
	flat_load_dwordx2 v[4:5], v[2:3] offset:8 glc dlc
	s_waitcnt vmcnt(0) lgkmcnt(0)
	v_cmp_ne_u64_e32 vcc_lo, -1, v[4:5]
	s_and_b32 s4, vcc_lo, s4
	s_and_b32 exec_lo, exec_lo, s4
	s_cbranch_execz .LBB2_1237
; %bb.1229:
	s_mov_b32 s11, 0
                                        ; implicit-def: $sgpr4
                                        ; implicit-def: $sgpr10
	s_inst_prefetch 0x1
	s_branch .LBB2_1232
	.p2align	6
.LBB2_1230:                             ;   in Loop: Header=BB2_1232 Depth=1
	flat_load_dwordx2 v[4:5], v[2:3] offset:8 glc dlc
	s_waitcnt vmcnt(0)
	s_andn2_b32 s10, s10, exec_lo
	s_waitcnt lgkmcnt(0)
	v_cmp_eq_u64_e32 vcc_lo, -1, v[4:5]
	s_orn2_b32 s13, vcc_lo, exec_lo
.LBB2_1231:                             ;   in Loop: Header=BB2_1232 Depth=1
	s_or_b32 exec_lo, exec_lo, s14
	s_and_b32 s12, exec_lo, s13
	s_or_b32 s7, s12, s7
	s_andn2_b32 s4, s4, exec_lo
	s_and_b32 s12, s10, exec_lo
	s_or_b32 s4, s4, s12
	s_andn2_b32 exec_lo, exec_lo, s7
	s_cbranch_execz .LBB2_1235
.LBB2_1232:                             ; =>This Inner Loop Header: Depth=1
	s_cmpk_lt_i32 s11, 0x270f
	s_cselect_b32 s12, -1, 0
	s_and_b32 vcc_lo, exec_lo, s12
	s_cbranch_vccnz .LBB2_1234
; %bb.1233:                             ;   in Loop: Header=BB2_1232 Depth=1
	s_trap 2
	ds_read_b64 v[4:5], v0
	s_andn2_b32 s12, s12, exec_lo
	s_mov_b32 s11, 0
	s_waitcnt lgkmcnt(0)
	s_waitcnt_vscnt null, 0x0
	flat_load_dword v0, v[4:5] glc dlc
	s_waitcnt vmcnt(0) lgkmcnt(0)
	buffer_gl1_inv
	buffer_gl0_inv
	v_cmp_eq_u32_e32 vcc_lo, 0, v0
	s_and_b32 s13, vcc_lo, exec_lo
	s_or_b32 s12, s12, s13
	s_mov_b32 s13, -1
	s_or_b32 s10, s10, exec_lo
	s_and_saveexec_b32 s14, s12
	s_cbranch_execz .LBB2_1231
	s_branch .LBB2_1230
	.p2align	6
.LBB2_1234:                             ;   in Loop: Header=BB2_1232 Depth=1
	s_add_i32 s11, s11, 1
                                        ; implicit-def: $vgpr0
	s_mov_b32 s13, -1
	s_or_b32 s10, s10, exec_lo
	s_and_saveexec_b32 s14, s12
	s_cbranch_execz .LBB2_1231
	s_branch .LBB2_1230
.LBB2_1235:
	s_inst_prefetch 0x2
	s_or_b32 exec_lo, exec_lo, s7
	s_and_saveexec_b32 s7, s4
	s_xor_b32 s7, exec_lo, s7
	s_cbranch_execz .LBB2_1237
; %bb.1236:
	s_waitcnt_vscnt null, 0x0
	ds_write_b32 v0, v0
	s_trap 2
.LBB2_1237:
	s_or_b32 exec_lo, exec_lo, s6
	v_and_b32_e32 v0, 0x2000, v71
	s_mov_b32 s4, exec_lo
	v_cmpx_ne_u32_e32 0, v0
	s_cbranch_execz .LBB2_1239
; %bb.1238:
	s_trap 2
	ds_read_b64 v[2:3], v0
	s_waitcnt lgkmcnt(0)
	flat_store_dwordx2 v[16:17], v[2:3] offset:16
.LBB2_1239:
	s_or_b32 exec_lo, exec_lo, s4
	v_cmp_ne_u32_e32 vcc_lo, 32, v1
	s_and_b32 exec_lo, exec_lo, vcc_lo
	s_cbranch_execz .LBB2_1257
; %bb.1240:
	s_waitcnt vmcnt(0)
	v_cmp_ne_u32_sdwa s4, v1, v70 src0_sel:DWORD src1_sel:WORD_0
	s_and_saveexec_b32 s6, s4
	s_xor_b32 s4, exec_lo, s6
	s_cbranch_execz .LBB2_1255
; %bb.1241:
	v_and_b32_e32 v0, 31, v31
	s_mov_b32 s6, exec_lo
	v_cmpx_eq_u32_e32 0, v0
	s_cbranch_execz .LBB2_1254
; %bb.1242:
	s_mov_b32 s10, exec_lo
	s_mov_b32 s7, exec_lo
	v_mbcnt_lo_u32_b32 v0, s10, 0
	s_waitcnt lgkmcnt(0)
	s_waitcnt_vscnt null, 0x0
	buffer_gl1_inv
	buffer_gl0_inv
	v_cmpx_eq_u32_e32 0, v0
	s_cbranch_execz .LBB2_1244
; %bb.1243:
	s_bcnt1_i32_b32 s10, s10
	v_mov_b32_e32 v3, 0
	v_mov_b32_e32 v2, s10
	ds_add_u64 v0, v[2:3]
	s_trap 2
.LBB2_1244:
	s_or_b32 exec_lo, exec_lo, s7
	s_trap 2
	ds_read_b64 v[2:3], v0
	s_waitcnt lgkmcnt(0)
	buffer_gl0_inv
	v_lshrrev_b32_e32 v0, 5, v1
	s_mov_b32 s7, exec_lo
	v_add_co_u32 v0, vcc_lo, v12, v0
	v_add_co_ci_u32_e64 v1, null, 0, v13, vcc_lo
	v_cmpx_lt_u64_e64 v[2:3], v[0:1]
	s_cbranch_execz .LBB2_1253
; %bb.1245:
	s_mov_b32 s10, 0
	s_mov_b32 s13, 0
                                        ; implicit-def: $sgpr11
                                        ; implicit-def: $sgpr12
	s_inst_prefetch 0x1
	s_branch .LBB2_1247
	.p2align	6
.LBB2_1246:                             ;   in Loop: Header=BB2_1247 Depth=1
	s_or_b32 exec_lo, exec_lo, s15
	s_and_b32 s14, exec_lo, s16
	s_or_b32 s10, s14, s10
	s_andn2_b32 s11, s11, exec_lo
	s_and_b32 s14, s12, exec_lo
	s_or_b32 s11, s11, s14
	s_andn2_b32 exec_lo, exec_lo, s10
	s_cbranch_execz .LBB2_1251
.LBB2_1247:                             ; =>This Inner Loop Header: Depth=1
	s_add_i32 s13, s13, 1
	s_cmpk_lg_i32 s13, 0x2710
	s_cselect_b32 s14, -1, 0
	s_and_b32 vcc_lo, exec_lo, s14
	s_cbranch_vccz .LBB2_1249
; %bb.1248:                             ;   in Loop: Header=BB2_1247 Depth=1
	s_mov_b32 s16, -1
	s_or_b32 s12, s12, exec_lo
	s_and_saveexec_b32 s15, s14
	s_cbranch_execz .LBB2_1246
	s_branch .LBB2_1250
.LBB2_1249:                             ;   in Loop: Header=BB2_1247 Depth=1
	s_trap 2
	ds_read_b64 v[2:3], v0
	s_andn2_b32 s14, s14, exec_lo
	s_mov_b32 s13, 0
	s_waitcnt lgkmcnt(0)
	flat_load_dword v2, v[2:3] glc dlc
	s_waitcnt vmcnt(0) lgkmcnt(0)
	buffer_gl1_inv
	buffer_gl0_inv
	v_cmp_eq_u32_e32 vcc_lo, 0, v2
	s_and_b32 s15, vcc_lo, exec_lo
	s_or_b32 s14, s14, s15
	s_mov_b32 s16, -1
	s_or_b32 s12, s12, exec_lo
	s_and_saveexec_b32 s15, s14
	s_cbranch_execz .LBB2_1246
.LBB2_1250:                             ;   in Loop: Header=BB2_1247 Depth=1
	s_sleep 1
	s_trap 2
	ds_read_b64 v[2:3], v0
	s_waitcnt lgkmcnt(0)
	buffer_gl0_inv
	s_andn2_b32 s12, s12, exec_lo
	v_cmp_ge_u64_e32 vcc_lo, v[2:3], v[0:1]
	s_orn2_b32 s16, vcc_lo, exec_lo
	s_branch .LBB2_1246
.LBB2_1251:
	s_inst_prefetch 0x2
	s_or_b32 exec_lo, exec_lo, s10
	s_and_saveexec_b32 s10, s11
	s_xor_b32 s10, exec_lo, s10
	s_cbranch_execz .LBB2_1253
; %bb.1252:
	v_mov_b32_e32 v0, 1
	ds_write_b32 v0, v0
	s_trap 2
.LBB2_1253:
	s_or_b32 exec_lo, exec_lo, s7
	;;#ASMSTART
	s_wakeup
	;;#ASMEND
.LBB2_1254:
	s_or_b32 exec_lo, exec_lo, s6
.LBB2_1255:
	s_andn2_saveexec_b32 s4, s4
	s_cbranch_execz .LBB2_1257
; %bb.1256:
	s_waitcnt lgkmcnt(0)
	s_waitcnt_vscnt null, 0x0
	buffer_gl1_inv
	buffer_gl0_inv
	s_barrier
.LBB2_1257:
	s_or_b32 exec_lo, exec_lo, s5
.LBB2_1258:
	s_andn2_saveexec_b32 s25, s24
	s_cbranch_execz .LBB2_1260
; %bb.1259:
	s_getpc_b64 s[4:5]
	s_add_u32 s4, s4, __PRETTY_FUNCTION__._ZN10PrimitivesIh8FuncProdIhE12FanSymmetricILi1EELi0E11ProtoSimpleILi2ELi2ELi0ELi1ELi0ELi0EELi0ELb0ELi0ELi0ELi0EEC2EiiPKiS8_PKvPvmhhhP15ncclDevWorkCollP14ncclDevWorkP2pii@rel32@lo+4
	s_addc_u32 s5, s5, __PRETTY_FUNCTION__._ZN10PrimitivesIh8FuncProdIhE12FanSymmetricILi1EELi0E11ProtoSimpleILi2ELi2ELi0ELi1ELi0ELi0EELi0ELb0ELi0ELi0ELi0EEC2EiiPKiS8_PKvPvmhhhP15ncclDevWorkCollP14ncclDevWorkP2pii@rel32@hi+12
	v_mov_b32_e32 v0, s4
	v_mov_b32_e32 v1, s5
	s_getpc_b64 s[6:7]
	s_add_u32 s6, s6, __assert_fail@rel32@lo+4
	s_addc_u32 s7, s7, __assert_fail@rel32@hi+12
	s_swappc_b64 s[30:31], s[6:7]
	; divergent unreachable
.LBB2_1260:
	s_or_b32 exec_lo, exec_lo, s25
	s_clause 0x22
	buffer_load_dword v106, off, s[0:3], s33
	buffer_load_dword v105, off, s[0:3], s33 offset:4
	buffer_load_dword v104, off, s[0:3], s33 offset:8
	;; [unrolled: 1-line block ×34, first 2 shown]
	v_readlane_b32 s30, v107, 0
	v_readlane_b32 s31, v107, 1
	s_mov_b32 s32, s33
	s_or_saveexec_b32 s4, -1
	buffer_load_dword v107, off, s[0:3], s33 offset:140 ; 4-byte Folded Reload
	s_mov_b32 exec_lo, s4
	s_mov_b32 s33, s88
	s_waitcnt vmcnt(0) lgkmcnt(0)
	s_setpc_b64 s[30:31]
.Lfunc_end2:
	.size	_ZN12_GLOBAL__N_17runRingIh8FuncProdIhE11ProtoSimpleILi2ELi2ELi0ELi1ELi0ELi0EELi0ELi0ELi1ELi0EEEviiP15ncclDevWorkColl, .Lfunc_end2-_ZN12_GLOBAL__N_17runRingIh8FuncProdIhE11ProtoSimpleILi2ELi2ELi0ELi1ELi0ELi0EELi0ELi0ELi1ELi0EEEviiP15ncclDevWorkColl
                                        ; -- End function
	.set .L_ZN12_GLOBAL__N_17runRingIh8FuncProdIhE11ProtoSimpleILi2ELi2ELi0ELi1ELi0ELi0EELi0ELi0ELi1ELi0EEEviiP15ncclDevWorkColl.num_vgpr, max(120, .L__assert_fail.num_vgpr)
	.set .L_ZN12_GLOBAL__N_17runRingIh8FuncProdIhE11ProtoSimpleILi2ELi2ELi0ELi1ELi0ELi0EELi0ELi0ELi1ELi0EEEviiP15ncclDevWorkColl.num_agpr, max(0, .L__assert_fail.num_agpr)
	.set .L_ZN12_GLOBAL__N_17runRingIh8FuncProdIhE11ProtoSimpleILi2ELi2ELi0ELi1ELi0ELi0EELi0ELi0ELi1ELi0EEEviiP15ncclDevWorkColl.numbered_sgpr, max(89, .L__assert_fail.numbered_sgpr)
	.set .L_ZN12_GLOBAL__N_17runRingIh8FuncProdIhE11ProtoSimpleILi2ELi2ELi0ELi1ELi0ELi0EELi0ELi0ELi1ELi0EEEviiP15ncclDevWorkColl.num_named_barrier, max(0, .L__assert_fail.num_named_barrier)
	.set .L_ZN12_GLOBAL__N_17runRingIh8FuncProdIhE11ProtoSimpleILi2ELi2ELi0ELi1ELi0ELi0EELi0ELi0ELi1ELi0EEEviiP15ncclDevWorkColl.private_seg_size, 160+max(.L__assert_fail.private_seg_size)
	.set .L_ZN12_GLOBAL__N_17runRingIh8FuncProdIhE11ProtoSimpleILi2ELi2ELi0ELi1ELi0ELi0EELi0ELi0ELi1ELi0EEEviiP15ncclDevWorkColl.uses_vcc, or(1, .L__assert_fail.uses_vcc)
	.set .L_ZN12_GLOBAL__N_17runRingIh8FuncProdIhE11ProtoSimpleILi2ELi2ELi0ELi1ELi0ELi0EELi0ELi0ELi1ELi0EEEviiP15ncclDevWorkColl.uses_flat_scratch, or(1, .L__assert_fail.uses_flat_scratch)
	.set .L_ZN12_GLOBAL__N_17runRingIh8FuncProdIhE11ProtoSimpleILi2ELi2ELi0ELi1ELi0ELi0EELi0ELi0ELi1ELi0EEEviiP15ncclDevWorkColl.has_dyn_sized_stack, or(0, .L__assert_fail.has_dyn_sized_stack)
	.set .L_ZN12_GLOBAL__N_17runRingIh8FuncProdIhE11ProtoSimpleILi2ELi2ELi0ELi1ELi0ELi0EELi0ELi0ELi1ELi0EEEviiP15ncclDevWorkColl.has_recursion, or(1, .L__assert_fail.has_recursion)
	.set .L_ZN12_GLOBAL__N_17runRingIh8FuncProdIhE11ProtoSimpleILi2ELi2ELi0ELi1ELi0ELi0EELi0ELi0ELi1ELi0EEEviiP15ncclDevWorkColl.has_indirect_call, or(0, .L__assert_fail.has_indirect_call)
	.section	.AMDGPU.csdata,"",@progbits
; Function info:
; codeLenInByte = 46584
; TotalNumSgprs: 91
; NumVgprs: 120
; ScratchSize: 224
; MemoryBound: 1
	.text
	.p2align	2                               ; -- Begin function _Z47ncclDevFunc_AllReduce_RING_SIMPLE_Prod_u8_0_0_1v
	.type	_Z47ncclDevFunc_AllReduce_RING_SIMPLE_Prod_u8_0_0_1v,@function
_Z47ncclDevFunc_AllReduce_RING_SIMPLE_Prod_u8_0_0_1v: ; @_Z47ncclDevFunc_AllReduce_RING_SIMPLE_Prod_u8_0_0_1v
; %bb.0:
	s_waitcnt vmcnt(0) expcnt(0) lgkmcnt(0)
	s_mov_b32 s94, s33
	s_mov_b32 s33, s32
	s_or_saveexec_b32 s4, -1
	buffer_store_dword v43, off, s[0:3], s33 offset:16 ; 4-byte Folded Spill
	s_mov_b32 exec_lo, s4
	s_addk_i32 s32, 0x400
	buffer_store_dword v40, off, s[0:3], s33 offset:12 ; 4-byte Folded Spill
	buffer_store_dword v41, off, s[0:3], s33 offset:8 ; 4-byte Folded Spill
	;; [unrolled: 1-line block ×3, first 2 shown]
	buffer_store_dword v107, off, s[0:3], s33 ; 4-byte Folded Spill
	v_writelane_b32 v43, s30, 0
	v_writelane_b32 v43, s31, 1
	s_trap 2
	ds_read_b32 v0, v0
	v_mov_b32_e32 v40, v31
	s_waitcnt lgkmcnt(0)
	v_cmp_gt_i32_e32 vcc_lo, 1, v0
	s_cbranch_vccnz .LBB3_8
; %bb.1:
	v_and_b32_e32 v41, 0x3ff, v40
	v_mov_b32_e32 v42, 5
	s_mov_b32 s89, s12
	s_mov_b64 s[90:91], s[8:9]
	s_mov_b32 s92, 0
	s_inst_prefetch 0x1
	s_branch .LBB3_3
	.p2align	6
.LBB3_2:                                ;   in Loop: Header=BB3_3 Depth=1
	s_or_b32 exec_lo, exec_lo, s93
	s_trap 2
	ds_read_b32 v0, v0
	s_add_i32 s92, s92, 1
	s_waitcnt lgkmcnt(0)
	v_cmp_lt_i32_e32 vcc_lo, s92, v0
	s_cbranch_vccz .LBB3_8
.LBB3_3:                                ; =>This Inner Loop Header: Depth=1
	s_trap 2
	ds_read_b32 v0, v0
	s_cmp_eq_u32 s92, 0
	s_cbranch_scc1 .LBB3_6
; %bb.4:                                ;   in Loop: Header=BB3_3 Depth=1
	s_trap 2
	s_waitcnt lgkmcnt(0)
	ds_read_b32 v1, v0
	s_waitcnt lgkmcnt(0)
	v_xor_b32_e32 v1, v1, v0
	v_and_b32_e32 v1, 0xff0000, v1
	v_cmp_eq_u32_e32 vcc_lo, 0, v1
	s_cbranch_vccnz .LBB3_6
; %bb.5:                                ;   in Loop: Header=BB3_3 Depth=1
	s_waitcnt_vscnt null, 0x0
	s_barrier
	buffer_gl0_inv
	ds_read_b32 v0, v0
.LBB3_6:                                ;   in Loop: Header=BB3_3 Depth=1
	s_waitcnt lgkmcnt(0)
	v_lshlrev_b32_sdwa v1, v42, v0 dst_sel:DWORD dst_unused:UNUSED_PAD src0_sel:DWORD src1_sel:BYTE_2
	s_mov_b32 s93, exec_lo
	v_cmpx_lt_u32_e64 v41, v1
	s_cbranch_execz .LBB3_2
; %bb.7:                                ;   in Loop: Header=BB3_3 Depth=1
	s_mov_b64 s[4:5], src_shared_base
	v_mov_b32_e32 v31, v40
	v_mov_b32_e32 v0, v41
	;; [unrolled: 1-line block ×3, first 2 shown]
	s_getpc_b64 s[6:7]
	s_add_u32 s6, s6, _ZN12_GLOBAL__N_17runRingIh8FuncProdIhE11ProtoSimpleILi2ELi2ELi0ELi1ELi0ELi0EELi0ELi0ELi1ELi0EEEviiP15ncclDevWorkColl@rel32@lo+4
	s_addc_u32 s7, s7, _ZN12_GLOBAL__N_17runRingIh8FuncProdIhE11ProtoSimpleILi2ELi2ELi0ELi1ELi0ELi0EELi0ELi0ELi1ELi0EEEviiP15ncclDevWorkColl@rel32@hi+12
	s_mov_b64 s[8:9], s[90:91]
	s_mov_b32 s12, s89
	s_swappc_b64 s[30:31], s[6:7]
	s_branch .LBB3_2
.LBB3_8:
	s_inst_prefetch 0x2
	s_clause 0x3
	buffer_load_dword v107, off, s[0:3], s33
	buffer_load_dword v42, off, s[0:3], s33 offset:4
	buffer_load_dword v41, off, s[0:3], s33 offset:8
	;; [unrolled: 1-line block ×3, first 2 shown]
	v_readlane_b32 s30, v43, 0
	v_readlane_b32 s31, v43, 1
	s_mov_b32 s32, s33
	s_or_saveexec_b32 s4, -1
	buffer_load_dword v43, off, s[0:3], s33 offset:16 ; 4-byte Folded Reload
	s_mov_b32 exec_lo, s4
	s_mov_b32 s33, s94
	s_waitcnt vmcnt(0)
	s_setpc_b64 s[30:31]
.Lfunc_end3:
	.size	_Z47ncclDevFunc_AllReduce_RING_SIMPLE_Prod_u8_0_0_1v, .Lfunc_end3-_Z47ncclDevFunc_AllReduce_RING_SIMPLE_Prod_u8_0_0_1v
                                        ; -- End function
	.set .L_Z47ncclDevFunc_AllReduce_RING_SIMPLE_Prod_u8_0_0_1v.num_vgpr, max(108, .L_ZN12_GLOBAL__N_17runRingIh8FuncProdIhE11ProtoSimpleILi2ELi2ELi0ELi1ELi0ELi0EELi0ELi0ELi1ELi0EEEviiP15ncclDevWorkColl.num_vgpr)
	.set .L_Z47ncclDevFunc_AllReduce_RING_SIMPLE_Prod_u8_0_0_1v.num_agpr, max(0, .L_ZN12_GLOBAL__N_17runRingIh8FuncProdIhE11ProtoSimpleILi2ELi2ELi0ELi1ELi0ELi0EELi0ELi0ELi1ELi0EEEviiP15ncclDevWorkColl.num_agpr)
	.set .L_Z47ncclDevFunc_AllReduce_RING_SIMPLE_Prod_u8_0_0_1v.numbered_sgpr, max(95, .L_ZN12_GLOBAL__N_17runRingIh8FuncProdIhE11ProtoSimpleILi2ELi2ELi0ELi1ELi0ELi0EELi0ELi0ELi1ELi0EEEviiP15ncclDevWorkColl.numbered_sgpr)
	.set .L_Z47ncclDevFunc_AllReduce_RING_SIMPLE_Prod_u8_0_0_1v.num_named_barrier, max(0, .L_ZN12_GLOBAL__N_17runRingIh8FuncProdIhE11ProtoSimpleILi2ELi2ELi0ELi1ELi0ELi0EELi0ELi0ELi1ELi0EEEviiP15ncclDevWorkColl.num_named_barrier)
	.set .L_Z47ncclDevFunc_AllReduce_RING_SIMPLE_Prod_u8_0_0_1v.private_seg_size, 32+max(.L_ZN12_GLOBAL__N_17runRingIh8FuncProdIhE11ProtoSimpleILi2ELi2ELi0ELi1ELi0ELi0EELi0ELi0ELi1ELi0EEEviiP15ncclDevWorkColl.private_seg_size)
	.set .L_Z47ncclDevFunc_AllReduce_RING_SIMPLE_Prod_u8_0_0_1v.uses_vcc, or(1, .L_ZN12_GLOBAL__N_17runRingIh8FuncProdIhE11ProtoSimpleILi2ELi2ELi0ELi1ELi0ELi0EELi0ELi0ELi1ELi0EEEviiP15ncclDevWorkColl.uses_vcc)
	.set .L_Z47ncclDevFunc_AllReduce_RING_SIMPLE_Prod_u8_0_0_1v.uses_flat_scratch, or(0, .L_ZN12_GLOBAL__N_17runRingIh8FuncProdIhE11ProtoSimpleILi2ELi2ELi0ELi1ELi0ELi0EELi0ELi0ELi1ELi0EEEviiP15ncclDevWorkColl.uses_flat_scratch)
	.set .L_Z47ncclDevFunc_AllReduce_RING_SIMPLE_Prod_u8_0_0_1v.has_dyn_sized_stack, or(0, .L_ZN12_GLOBAL__N_17runRingIh8FuncProdIhE11ProtoSimpleILi2ELi2ELi0ELi1ELi0ELi0EELi0ELi0ELi1ELi0EEEviiP15ncclDevWorkColl.has_dyn_sized_stack)
	.set .L_Z47ncclDevFunc_AllReduce_RING_SIMPLE_Prod_u8_0_0_1v.has_recursion, or(1, .L_ZN12_GLOBAL__N_17runRingIh8FuncProdIhE11ProtoSimpleILi2ELi2ELi0ELi1ELi0ELi0EELi0ELi0ELi1ELi0EEEviiP15ncclDevWorkColl.has_recursion)
	.set .L_Z47ncclDevFunc_AllReduce_RING_SIMPLE_Prod_u8_0_0_1v.has_indirect_call, or(0, .L_ZN12_GLOBAL__N_17runRingIh8FuncProdIhE11ProtoSimpleILi2ELi2ELi0ELi1ELi0ELi0EELi0ELi0ELi1ELi0EEEviiP15ncclDevWorkColl.has_indirect_call)
	.section	.AMDGPU.csdata,"",@progbits
; Function info:
; codeLenInByte = 476
; TotalNumSgprs: 97
; NumVgprs: 120
; ScratchSize: 256
; MemoryBound: 0
	.text
	.p2align	2                               ; -- Begin function _ZN12_GLOBAL__N_17runRingIh8FuncProdIhE11ProtoSimpleILi2ELi2ELi0ELi2ELi0ELi0EELi0ELi0ELi2ELi0EEEviiP15ncclDevWorkColl
	.type	_ZN12_GLOBAL__N_17runRingIh8FuncProdIhE11ProtoSimpleILi2ELi2ELi0ELi2ELi0ELi0EELi0ELi0ELi2ELi0EEEviiP15ncclDevWorkColl,@function
_ZN12_GLOBAL__N_17runRingIh8FuncProdIhE11ProtoSimpleILi2ELi2ELi0ELi2ELi0ELi0EELi0ELi0ELi2ELi0EEEviiP15ncclDevWorkColl: ; @_ZN12_GLOBAL__N_17runRingIh8FuncProdIhE11ProtoSimpleILi2ELi2ELi0ELi2ELi0ELi0EELi0ELi0ELi2ELi0EEEviiP15ncclDevWorkColl
; %bb.0:
	s_waitcnt vmcnt(0) expcnt(0) lgkmcnt(0)
	s_mov_b32 s88, s33
	s_mov_b32 s33, s32
	s_or_saveexec_b32 s4, -1
	buffer_store_dword v111, off, s[0:3], s33 offset:156 ; 4-byte Folded Spill
	s_mov_b32 exec_lo, s4
	s_addk_i32 s32, 0x1600
	buffer_store_dword v40, off, s[0:3], s33 offset:152 ; 4-byte Folded Spill
	buffer_store_dword v41, off, s[0:3], s33 offset:148 ; 4-byte Folded Spill
	;; [unrolled: 1-line block ×38, first 2 shown]
	buffer_store_dword v110, off, s[0:3], s33 ; 4-byte Folded Spill
	v_writelane_b32 v111, s30, 0
	v_writelane_b32 v111, s31, 1
	s_trap 2
	flat_load_dword v9, v[2:3]
	ds_read_b32 v6, v0
                                        ; implicit-def: $vgpr28_vgpr29
                                        ; implicit-def: $vgpr14_vgpr15
                                        ; implicit-def: $vgpr4_vgpr5
	s_waitcnt lgkmcnt(0)
	v_readfirstlane_b32 s25, v6
	s_waitcnt vmcnt(0)
	v_cmp_ne_u32_sdwa s4, v6, v9 src0_sel:DWORD src1_sel:BYTE_0
	s_and_saveexec_b32 s5, s4
	s_xor_b32 s4, exec_lo, s5
	s_cbranch_execz .LBB4_6
; %bb.1:
	v_not_b32_sdwa v8, v9 dst_sel:DWORD dst_unused:UNUSED_PAD src0_sel:BYTE_0
	v_cmp_ne_u32_sdwa s5, v6, v9 src0_sel:DWORD src1_sel:BYTE_1
                                        ; implicit-def: $vgpr28_vgpr29
                                        ; implicit-def: $vgpr14_vgpr15
                                        ; implicit-def: $vgpr4_vgpr5
	s_and_saveexec_b32 s6, s5
	s_xor_b32 s5, exec_lo, s6
	s_cbranch_execz .LBB4_3
; %bb.2:
	s_clause 0x1
	flat_load_dwordx4 v[9:12], v[2:3] offset:72
	flat_load_dwordx2 v[4:5], v[2:3] offset:96
	v_add_nc_u32_e32 v6, v6, v8
                                        ; implicit-def: $vgpr8
	v_ashrrev_i32_e32 v7, 31, v6
	s_waitcnt vmcnt(1) lgkmcnt(1)
	v_mul_lo_u32 v7, v11, v7
	v_mad_u64_u32 v[14:15], null, v11, v6, v[9:10]
	v_mul_lo_u32 v6, v12, v6
	s_waitcnt vmcnt(0) lgkmcnt(0)
	v_lshrrev_b64 v[28:29], 12, v[4:5]
	v_mov_b32_e32 v4, v11
	v_mov_b32_e32 v5, v12
                                        ; implicit-def: $vgpr9
	v_add3_u32 v15, v6, v15, v7
.LBB4_3:
	s_andn2_saveexec_b32 s5, s5
	s_cbranch_execz .LBB4_5
; %bb.4:
	s_clause 0x1
	flat_load_dwordx4 v[10:13], v[2:3] offset:72
	flat_load_dwordx4 v[4:7], v[2:3] offset:88
	s_waitcnt vmcnt(0) lgkmcnt(0)
	v_add_nc_u32_sdwa v6, v9, v8 dst_sel:DWORD dst_unused:UNUSED_PAD src0_sel:BYTE_1 src1_sel:DWORD
	v_ashrrev_i32_e32 v8, 31, v6
	v_mul_lo_u32 v8, v12, v8
	v_mad_u64_u32 v[14:15], null, v12, v6, v[10:11]
	v_mul_lo_u32 v6, v13, v6
	v_lshrrev_b32_e32 v28, 1, v7
	v_add3_u32 v15, v6, v15, v8
.LBB4_5:
	s_or_b32 exec_lo, exec_lo, s5
.LBB4_6:
	s_andn2_saveexec_b32 s4, s4
	s_cbranch_execz .LBB4_8
; %bb.7:
	s_clause 0x1
	flat_load_dwordx2 v[6:7], v[2:3] offset:96
	flat_load_dwordx2 v[4:5], v[2:3] offset:72
	v_mov_b32_e32 v14, 0
	v_mov_b32_e32 v15, 0
	s_waitcnt vmcnt(1) lgkmcnt(1)
	v_lshlrev_b64 v[28:29], 9, v[6:7]
.LBB4_8:
	s_or_b32 exec_lo, exec_lo, s4
	s_trap 2
	ds_read_b64 v[6:7], v0
	s_mov_b32 s5, exec_lo
	s_waitcnt lgkmcnt(0)
	v_cmp_ne_u32_e32 vcc_lo, -1, v6
	v_cndmask_b32_e64 v38, 0, 1, vcc_lo
	v_cmp_ne_u32_e32 vcc_lo, -1, v7
	v_add_co_ci_u32_e64 v8, null, 0, v38, vcc_lo
	v_lshlrev_b32_e32 v6, 1, v8
	v_cmpx_le_u32_e64 v6, v1
	s_xor_b32 s24, exec_lo, s5
	s_cbranch_execz .LBB4_1254
; %bb.9:
	s_clause 0x3
	flat_load_dwordx4 v[10:13], v[2:3] offset:16
	flat_load_dwordx2 v[29:30], v[2:3] offset:104
	flat_load_ushort v7, v[2:3] offset:8
	flat_load_dword v6, v[2:3] offset:4
	s_trap 2
	s_load_dword s4, s[8:9], 0x0
	v_mov_b32_e32 v9, 0
	v_mov_b32_e32 v69, 4
	s_waitcnt lgkmcnt(0)
	s_cmp_lt_u32 s12, s4
	s_cselect_b32 s4, 12, 18
	s_add_u32 s4, s8, s4
	s_addc_u32 s5, s9, 0
	global_load_ushort v68, v9, s[4:5]
	ds_read_b32 v9, v0
	s_mov_b32 s5, exec_lo
	s_waitcnt lgkmcnt(0)
	v_readfirstlane_b32 s12, v9
	v_cmpx_ge_i32_e64 v0, v38
	s_cbranch_execz .LBB4_19
; %bb.10:
	v_cmp_ge_u32_e64 s4, v0, v8
                                        ; implicit-def: $vgpr69
	s_and_saveexec_b32 s6, s4
	s_xor_b32 s4, exec_lo, s6
	s_cbranch_execz .LBB4_16
; %bb.11:
	v_cndmask_b32_e64 v9, 0, 1, vcc_lo
	s_mov_b32 s6, exec_lo
	v_sub_nc_u32_e32 v9, v1, v9
	v_cmpx_ge_u32_e64 v0, v9
	s_xor_b32 s6, exec_lo, s6
; %bb.12:
                                        ; implicit-def: $vgpr8
; %bb.13:
	s_or_saveexec_b32 s6, s6
	v_mov_b32_e32 v69, 16
	s_xor_b32 exec_lo, exec_lo, s6
; %bb.14:
	v_sub_nc_u32_e32 v8, v1, v8
	v_cmp_lt_i32_e32 vcc_lo, v0, v8
	v_cndmask_b32_e64 v69, 32, 0, vcc_lo
; %bb.15:
	s_or_b32 exec_lo, exec_lo, s6
.LBB4_16:
	s_andn2_saveexec_b32 s4, s4
; %bb.17:
	v_mov_b32_e32 v69, 8
; %bb.18:
	s_or_b32 exec_lo, exec_lo, s4
.LBB4_19:
	s_or_b32 exec_lo, exec_lo, s5
	v_and_b32_e32 v8, 36, v69
	v_cmp_ne_u32_e32 vcc_lo, 0, v8
	v_mov_b32_e32 v8, -1
	s_and_saveexec_b32 s4, vcc_lo
	s_cbranch_execz .LBB4_21
; %bb.20:
	s_trap 2
	ds_read_b32 v8, v0
.LBB4_21:
	s_or_b32 exec_lo, exec_lo, s4
	v_and_b32_e32 v9, 24, v69
	s_mov_b32 s5, exec_lo
	v_cmpx_ne_u32_e32 0, v9
	s_cbranch_execz .LBB4_23
; %bb.22:
	s_trap 2
	s_waitcnt lgkmcnt(0)
	ds_read_b32 v8, v0
.LBB4_23:
	s_or_b32 exec_lo, exec_lo, s5
	s_waitcnt vmcnt(1)
	v_lshrrev_b64 v[16:17], 31, v[6:7]
	v_mov_b32_e32 v18, 0
	v_mov_b32_e32 v6, 0
	;; [unrolled: 1-line block ×4, first 2 shown]
                                        ; implicit-def: $vgpr70
                                        ; implicit-def: $vgpr36_vgpr37
                                        ; implicit-def: $vgpr22_vgpr23
                                        ; implicit-def: $vgpr26_vgpr27
                                        ; implicit-def: $vgpr20_vgpr21
	v_and_b32_e32 v32, 3, v16
                                        ; implicit-def: $vgpr16_vgpr17
	s_and_saveexec_b32 s4, vcc_lo
	s_cbranch_execz .LBB4_33
; %bb.24:
	s_trap 2
	ds_read_b64 v[6:7], v0
	s_waitcnt lgkmcnt(1)
	v_ashrrev_i32_e32 v9, 31, v8
	s_mov_b32 s5, exec_lo
	v_lshlrev_b64 v[16:17], 3, v[8:9]
	v_and_b32_e32 v9, 0xffff, v32
	s_waitcnt lgkmcnt(0)
	v_add_co_u32 v6, vcc_lo, v6, v16
	v_add_co_ci_u32_e64 v7, null, v7, v17, vcc_lo
                                        ; implicit-def: $vgpr16_vgpr17
	flat_load_dwordx2 v[6:7], v[6:7]
	s_waitcnt vmcnt(0) lgkmcnt(0)
	v_mad_u64_u32 v[24:25], null, 0xa8, v9, v[6:7]
	flat_load_dword v6, v[24:25] offset:640
	s_waitcnt vmcnt(0) lgkmcnt(0)
	v_cmpx_eq_u32_e32 1, v6
	s_cbranch_execz .LBB4_26
; %bb.25:
	flat_load_dwordx2 v[16:17], v[24:25] offset:648
	v_or_b32_e32 v69, 0x2000, v69
	s_waitcnt vmcnt(0) lgkmcnt(0)
	flat_load_dwordx2 v[6:7], v[16:17]
	s_trap 2
	s_waitcnt vmcnt(0) lgkmcnt(0)
	ds_write_b64 v0, v[6:7]
	flat_load_dwordx2 v[6:7], v[16:17] offset:8
	s_waitcnt vmcnt(0) lgkmcnt(0)
	ds_write_b64 v0, v[6:7]
	flat_load_dwordx2 v[6:7], v[16:17] offset:16
	s_waitcnt vmcnt(0) lgkmcnt(0)
	ds_write_b64 v0, v[6:7]
.LBB4_26:
	s_or_b32 exec_lo, exec_lo, s5
	flat_load_dwordx2 v[6:7], v[24:25] offset:608
	v_and_b32_e32 v9, 32, v69
	s_mov_b32 s5, exec_lo
                                        ; implicit-def: $vgpr20_vgpr21
	s_waitcnt vmcnt(0) lgkmcnt(0)
	v_add_co_u32 v6, vcc_lo, v6, 3
	v_add_co_ci_u32_e64 v37, null, 0, v7, vcc_lo
	v_and_b32_e32 v36, -4, v6
	v_cmpx_ne_u32_e32 0, v9
	s_cbranch_execz .LBB4_28
; %bb.27:
	flat_load_dwordx2 v[20:21], v[24:25] offset:560
	s_waitcnt vmcnt(0) lgkmcnt(0)
	s_waitcnt_vscnt null, 0x0
	flat_store_dwordx2 v[20:21], v[36:37]
.LBB4_28:
	s_or_b32 exec_lo, exec_lo, s5
	v_add_co_u32 v18, vcc_lo, 0x1f8, v24
	v_mov_b32_e32 v6, 0
	v_and_b32_e32 v9, 4, v69
	v_add_co_ci_u32_e64 v19, null, 0, v25, vcc_lo
	v_mov_b32_e32 v7, 0
	s_mov_b32 s5, exec_lo
                                        ; implicit-def: $vgpr70
                                        ; implicit-def: $vgpr22_vgpr23
                                        ; implicit-def: $vgpr26_vgpr27
	v_cmpx_ne_u32_e32 0, v9
	s_cbranch_execz .LBB4_32
; %bb.29:
	v_and_b32_e32 v6, 0x800, v69
	s_mov_b32 s6, exec_lo
	v_cmpx_eq_u32_e32 0, v6
	s_cbranch_execz .LBB4_31
; %bb.30:
	s_trap 2
	ds_write_b64 v0, v[18:19]
.LBB4_31:
	s_or_b32 exec_lo, exec_lo, s6
	flat_load_dwordx2 v[20:21], v[24:25] offset:552
	v_or_b32_e32 v9, 0x100, v69
	s_waitcnt vmcnt(0) lgkmcnt(0)
	flat_load_dwordx2 v[26:27], v[20:21] glc dlc
	s_clause 0x2
	flat_load_dwordx2 v[6:7], v[24:25] offset:600
	flat_load_dword v70, v[24:25] offset:576
	flat_load_dwordx2 v[22:23], v[24:25] offset:520
	s_waitcnt vmcnt(2) lgkmcnt(2)
	v_cmp_eq_u64_e32 vcc_lo, 0, v[6:7]
	v_cndmask_b32_e32 v69, v9, v69, vcc_lo
.LBB4_32:
	s_or_b32 exec_lo, exec_lo, s5
.LBB4_33:
	s_or_b32 exec_lo, exec_lo, s4
	v_and_b32_e32 v9, 24, v69
	s_mov_b32 s4, exec_lo
                                        ; implicit-def: $vgpr24_vgpr25
	v_cmpx_ne_u32_e32 0, v9
	s_cbranch_execz .LBB4_41
; %bb.34:
	s_trap 2
	ds_read_b64 v[6:7], v0
	s_waitcnt lgkmcnt(1)
	v_ashrrev_i32_e32 v9, 31, v8
	v_or_b32_e32 v24, 0x100, v69
	v_lshlrev_b64 v[8:9], 3, v[8:9]
	s_waitcnt lgkmcnt(0)
	v_add_co_u32 v6, vcc_lo, v6, v8
	v_add_co_ci_u32_e64 v7, null, v7, v9, vcc_lo
	v_and_b32_e32 v8, 0xffff, v32
	flat_load_dwordx2 v[6:7], v[6:7]
	s_waitcnt vmcnt(0) lgkmcnt(0)
	v_mad_u64_u32 v[18:19], null, 0xa8, v8, v[6:7]
	flat_load_dwordx4 v[6:9], v[18:19] offset:96
	s_waitcnt vmcnt(0) lgkmcnt(0)
	v_cmp_eq_u64_e32 vcc_lo, 0, v[6:7]
	v_cndmask_b32_e32 v69, v24, v69, vcc_lo
	v_and_b32_e32 v24, 16, v69
	v_cmp_ne_u32_e32 vcc_lo, 0, v24
                                        ; implicit-def: $vgpr24_vgpr25
	s_and_saveexec_b32 s5, vcc_lo
	s_cbranch_execz .LBB4_36
; %bb.35:
	s_clause 0x2
	flat_load_dwordx2 v[20:21], v[18:19] offset:48
	flat_load_dwordx2 v[24:25], v[18:19] offset:120
	;; [unrolled: 1-line block ×3, first 2 shown]
.LBB4_36:
	s_or_b32 exec_lo, exec_lo, s5
	v_add_co_u32 v8, vcc_lo, v8, 3
	v_and_b32_e32 v32, 8, v69
	v_add_co_ci_u32_e64 v37, null, 0, v9, vcc_lo
	v_and_b32_e32 v36, -4, v8
	s_mov_b32 s5, exec_lo
	v_cmpx_ne_u32_e32 0, v32
	s_cbranch_execz .LBB4_40
; %bb.37:
	v_and_b32_e32 v8, 0x800, v69
	s_mov_b32 s6, exec_lo
	v_cmpx_eq_u32_e32 0, v8
	s_cbranch_execz .LBB4_39
; %bb.38:
	s_trap 2
	ds_write_b64 v0, v[18:19]
.LBB4_39:
	s_or_b32 exec_lo, exec_lo, s6
	s_waitcnt vmcnt(2) lgkmcnt(2)
	flat_load_dwordx2 v[20:21], v[18:19] offset:56
	s_waitcnt vmcnt(0) lgkmcnt(0)
	flat_load_dwordx2 v[26:27], v[20:21] glc dlc
	s_clause 0x1
	flat_load_dword v70, v[18:19] offset:72
	flat_load_dwordx2 v[22:23], v[18:19] offset:16
.LBB4_40:
	s_or_b32 exec_lo, exec_lo, s5
.LBB4_41:
	s_or_b32 exec_lo, exec_lo, s4
	v_cmp_eq_u32_e64 s4, 0, v0
	s_and_saveexec_b32 s5, s4
	s_cbranch_execz .LBB4_43
; %bb.42:
	s_waitcnt lgkmcnt(0)
	flat_load_dwordx2 v[8:9], v[2:3] offset:32
	ds_write2_b64 v0, v[12:13], v[10:11] offset1:1
	s_trap 2
	s_waitcnt vmcnt(0) lgkmcnt(1)
	ds_write_b64 v0, v[8:9]
	ds_write_b64 v0, v[29:30]
.LBB4_43:
	s_or_b32 exec_lo, exec_lo, s5
	v_mov_b32_e32 v12, 0
	v_mov_b32_e32 v13, 0
	s_mov_b32 s26, exec_lo
	v_cmpx_lt_i64_e32 0, v[4:5]
	s_cbranch_execz .LBB4_1220
; %bb.44:
	flat_load_dword v3, v[2:3] offset:4
	s_ashr_i32 s28, s25, 31
	s_waitcnt lgkmcnt(1)
	v_and_b32_e32 v8, 31, v31
	v_ashrrev_i32_e32 v9, 31, v0
	s_add_u32 s40, s25, -1
	s_addc_u32 s41, s28, -1
	s_add_i32 s42, s25, s25
	s_not_b32 s11, s25
	s_cmp_gt_i32 s25, 0
	v_lshrrev_b32_e32 v71, 5, v1
	s_cselect_b32 s13, s11, -1
	v_cmp_eq_u32_e64 s11, 0, v8
	v_lshrrev_b32_e32 v8, 27, v9
	v_and_b32_e32 v80, 0x1fe0, v1
	v_lshlrev_b32_e32 v86, 9, v71
	s_ashr_i32 s14, s12, 31
	s_add_i32 s43, s13, s42
	v_add_nc_u32_e32 v8, v0, v8
	v_subrev_nc_u32_e32 v96, 32, v80
	s_lshr_b32 s13, s14, 25
	v_add_nc_u32_e32 v97, 0xfffffe00, v86
	s_add_i32 s12, s12, s13
	v_and_b32_e32 v9, 0xffffffe0, v8
	v_ashrrev_i32_e32 v99, 5, v8
	v_and_b32_e32 v34, 0x3ffffe00, v28
	s_ashr_i32 s44, s43, 31
	s_ashr_i32 s45, s12, 7
	v_sub_nc_u32_e32 v101, v0, v9
	v_lshlrev_b32_e32 v8, 11, v99
	v_lshlrev_b32_e32 v9, 10, v99
	v_ashrrev_i32_e32 v98, 31, v96
	s_cmp_gt_i32 s25, 2
	v_mov_b32_e32 v2, 0
	v_lshl_add_u32 v112, v101, 4, v8
	s_cselect_b32 s46, -1, 0
	s_add_i32 s16, s25, 1
	v_ashrrev_i32_e32 v100, 31, v97
	v_add_co_u32 v102, s12, v96, 32
	v_sub_nc_u32_e32 v115, v112, v9
	v_mad_i64_i32 v[32:33], null, v34, s25, 0
	v_cmp_ge_i32_e32 vcc_lo, v0, v1
	v_add_co_ci_u32_e64 v103, null, 0, v98, s12
	v_add_co_u32 v113, s12, 0x200, v97
	v_mov_b32_e32 v28, 0
	s_waitcnt vmcnt(2)
	v_cmp_eq_u64_e64 s7, 0, v[24:25]
	v_cmp_ne_u64_e64 s10, 0, v[24:25]
	v_mov_b32_e32 v12, 0
	v_ashrrev_i32_e32 v30, 31, v70
	v_cmp_eq_u32_e64 s5, 32, v1
	v_cmp_ne_u32_e64 s6, 32, v1
	s_waitcnt vmcnt(1)
	v_cmp_ne_u32_sdwa s29, v1, v68 src0_sel:DWORD src1_sel:WORD_0
	v_mov_b32_e32 v29, 0
	v_mov_b32_e32 v81, 1
	;; [unrolled: 1-line block ×7, first 2 shown]
	v_lshlrev_b32_e32 v85, 11, v71
	v_lshlrev_b32_e32 v87, 10, v71
	v_add_co_ci_u32_e64 v114, null, 0, v100, s12
	v_cmp_gt_i32_e64 s12, 1, v101
	v_cmp_lt_i32_e64 s14, v101, v38
	v_cmp_le_i32_e64 s15, v101, v38
	v_ashrrev_i32_e32 v116, 31, v112
	v_ashrrev_i32_e32 v117, 31, v115
	s_mov_b32 s27, 0
	s_trap 2
	s_waitcnt vmcnt(0) lgkmcnt(0)
	v_and_b32_e32 v3, 1, v3
	v_cmp_eq_u32_e64 s13, 1, v3
	s_xor_b32 s47, s13, -1
	s_cmp_ge_i32 s16, s25
	s_cselect_b32 s17, s25, 0
	s_add_i32 s56, s25, -2
	s_sub_i32 s58, s16, s17
	s_xor_b32 s57, vcc_lo, -1
	s_ashr_i32 s20, s28, 31
	s_ashr_i32 s59, s58, 31
	s_sub_i32 s60, 0, s25
	s_branch .LBB4_47
.LBB4_45:                               ;   in Loop: Header=BB4_47 Depth=1
	s_or_b32 exec_lo, exec_lo, s18
.LBB4_46:                               ;   in Loop: Header=BB4_47 Depth=1
	s_or_b32 exec_lo, exec_lo, s17
	v_add_co_u32 v28, vcc_lo, v28, v32
	v_add_co_ci_u32_e64 v29, null, v29, v33, vcc_lo
	v_cmp_ge_i64_e32 vcc_lo, v[28:29], v[4:5]
	s_or_b32 s27, vcc_lo, s27
	s_andn2_b32 exec_lo, exec_lo, s27
	s_cbranch_execz .LBB4_1219
.LBB4_47:                               ; =>This Loop Header: Depth=1
                                        ;     Child Loop BB4_57 Depth 2
                                        ;       Child Loop BB4_65 Depth 3
                                        ;       Child Loop BB4_89 Depth 3
	;; [unrolled: 1-line block ×9, first 2 shown]
                                        ;     Child Loop BB4_199 Depth 2
                                        ;       Child Loop BB4_205 Depth 3
                                        ;       Child Loop BB4_229 Depth 3
	;; [unrolled: 1-line block ×3, first 2 shown]
                                        ;     Child Loop BB4_271 Depth 2
                                        ;       Child Loop BB4_274 Depth 3
                                        ;         Child Loop BB4_282 Depth 4
                                        ;         Child Loop BB4_310 Depth 4
	;; [unrolled: 1-line block ×9, first 2 shown]
                                        ;       Child Loop BB4_420 Depth 3
                                        ;         Child Loop BB4_426 Depth 4
                                        ;         Child Loop BB4_454 Depth 4
	;; [unrolled: 1-line block ×3, first 2 shown]
                                        ;     Child Loop BB4_495 Depth 2
                                        ;       Child Loop BB4_503 Depth 3
                                        ;       Child Loop BB4_531 Depth 3
	;; [unrolled: 1-line block ×5, first 2 shown]
                                        ;         Child Loop BB4_583 Depth 4
                                        ;       Child Loop BB4_592 Depth 3
                                        ;       Child Loop BB4_597 Depth 3
                                        ;         Child Loop BB4_598 Depth 4
                                        ;       Child Loop BB4_610 Depth 3
                                        ;       Child Loop BB4_615 Depth 3
	;; [unrolled: 1-line block ×6, first 2 shown]
                                        ;     Child Loop BB4_676 Depth 2
                                        ;       Child Loop BB4_682 Depth 3
                                        ;       Child Loop BB4_710 Depth 3
	;; [unrolled: 1-line block ×3, first 2 shown]
                                        ;     Child Loop BB4_751 Depth 2
                                        ;       Child Loop BB4_754 Depth 3
                                        ;         Child Loop BB4_762 Depth 4
                                        ;         Child Loop BB4_790 Depth 4
	;; [unrolled: 1-line block ×5, first 2 shown]
                                        ;           Child Loop BB4_842 Depth 5
                                        ;         Child Loop BB4_851 Depth 4
                                        ;         Child Loop BB4_856 Depth 4
                                        ;           Child Loop BB4_857 Depth 5
                                        ;         Child Loop BB4_869 Depth 4
                                        ;         Child Loop BB4_874 Depth 4
	;; [unrolled: 1-line block ×6, first 2 shown]
                                        ;       Child Loop BB4_935 Depth 3
                                        ;         Child Loop BB4_941 Depth 4
                                        ;         Child Loop BB4_969 Depth 4
	;; [unrolled: 1-line block ×3, first 2 shown]
                                        ;     Child Loop BB4_1013 Depth 2
                                        ;       Child Loop BB4_1021 Depth 3
                                        ;       Child Loop BB4_1045 Depth 3
	;; [unrolled: 1-line block ×9, first 2 shown]
                                        ;     Child Loop BB4_1153 Depth 2
                                        ;       Child Loop BB4_1159 Depth 3
                                        ;       Child Loop BB4_1183 Depth 3
	;; [unrolled: 1-line block ×3, first 2 shown]
	v_sub_co_u32 v38, vcc_lo, v4, v28
	v_sub_co_ci_u32_e64 v39, null, v5, v29, vcc_lo
	s_mov_b32 s17, exec_lo
	v_cmpx_lt_i64_e64 v[38:39], v[32:33]
	s_cbranch_execz .LBB4_53
; %bb.48:                               ;   in Loop: Header=BB4_47 Depth=1
	v_add_co_u32 v10, vcc_lo, s40, v38
	v_add_co_ci_u32_e64 v11, null, s41, v39, vcc_lo
                                        ; implicit-def: $vgpr8_vgpr9
	s_mov_b32 s16, exec_lo
	v_or_b32_e32 v3, s28, v11
	v_cmpx_ne_u64_e32 0, v[2:3]
	s_xor_b32 s22, exec_lo, s16
	s_cbranch_execz .LBB4_50
; %bb.49:                               ;   in Loop: Header=BB4_47 Depth=1
	s_add_u32 s18, s25, s20
	s_mov_b32 s21, s20
	s_addc_u32 s19, s28, s20
	v_ashrrev_i32_e32 v48, 31, v11
	s_xor_b64 s[18:19], s[18:19], s[20:21]
	v_cvt_f32_u32_e32 v3, s18
	v_cvt_f32_u32_e32 v8, s19
	s_sub_u32 s16, 0, s18
	s_subb_u32 s61, 0, s19
	v_add_co_u32 v9, vcc_lo, v10, v48
	v_fmac_f32_e32 v3, 0x4f800000, v8
	v_xor_b32_e32 v49, v9, v48
	v_rcp_f32_e32 v3, v3
	v_mul_f32_e32 v3, 0x5f7ffffc, v3
	v_mul_f32_e32 v8, 0x2f800000, v3
	v_trunc_f32_e32 v8, v8
	v_fmac_f32_e32 v3, 0xcf800000, v8
	v_cvt_u32_f32_e32 v8, v8
	v_cvt_u32_f32_e32 v3, v3
	v_readfirstlane_b32 s21, v8
	v_readfirstlane_b32 s23, v3
	s_mul_i32 s62, s16, s21
	v_add_co_ci_u32_e64 v3, null, v11, v48, vcc_lo
	s_mul_hi_u32 s72, s16, s23
	s_mul_i32 s63, s61, s23
	s_add_i32 s62, s72, s62
	s_mul_i32 s73, s16, s23
	s_add_i32 s62, s62, s63
	s_mul_hi_u32 s72, s23, s73
	s_mul_i32 s75, s23, s62
	s_mul_hi_u32 s74, s21, s73
	s_mul_i32 s63, s21, s73
	s_mul_hi_u32 s73, s23, s62
	s_add_u32 s72, s72, s75
	s_addc_u32 s73, 0, s73
	s_mul_hi_u32 s76, s21, s62
	s_add_u32 s63, s72, s63
	s_mul_i32 s62, s21, s62
	s_addc_u32 s63, s73, s74
	s_addc_u32 s72, s76, 0
	s_add_u32 s62, s63, s62
	s_addc_u32 s63, 0, s72
	s_add_u32 s23, s23, s62
	s_cselect_b32 s62, -1, 0
	s_mul_hi_u32 s72, s16, s23
	s_cmp_lg_u32 s62, 0
	s_mul_i32 s62, s16, s23
	s_addc_u32 s21, s21, s63
	s_mul_i32 s61, s61, s23
	s_mul_i32 s16, s16, s21
	s_mul_hi_u32 s63, s23, s62
	s_add_i32 s16, s72, s16
	s_mul_hi_u32 s72, s21, s62
	s_add_i32 s16, s16, s61
	s_mul_i32 s61, s21, s62
	s_mul_i32 s74, s23, s16
	s_mul_hi_u32 s73, s23, s16
	s_add_u32 s63, s63, s74
	s_addc_u32 s73, 0, s73
	s_mul_hi_u32 s62, s21, s16
	s_add_u32 s61, s63, s61
	s_mul_i32 s16, s21, s16
	s_addc_u32 s61, s73, s72
	s_addc_u32 s62, s62, 0
	s_add_u32 s16, s61, s16
	s_addc_u32 s61, 0, s62
	s_add_u32 s16, s23, s16
	s_cselect_b32 s23, -1, 0
	v_xor_b32_e32 v3, v3, v48
	s_cmp_lg_u32 s23, 0
	v_mul_hi_u32 v50, v49, s16
	s_addc_u32 s21, s21, s61
	v_mad_u64_u32 v[8:9], null, v49, s21, 0
	v_mad_u64_u32 v[10:11], null, v3, s16, 0
	;; [unrolled: 1-line block ×3, first 2 shown]
	v_add_co_u32 v8, vcc_lo, v50, v8
	v_add_co_ci_u32_e64 v9, null, 0, v9, vcc_lo
	v_add_co_u32 v8, vcc_lo, v8, v10
	v_add_co_ci_u32_e32 v8, vcc_lo, v9, v11, vcc_lo
	v_add_co_ci_u32_e32 v9, vcc_lo, 0, v35, vcc_lo
	v_add_co_u32 v10, vcc_lo, v8, v34
	v_add_co_ci_u32_e64 v11, null, 0, v9, vcc_lo
	v_mul_lo_u32 v34, s19, v10
	v_mad_u64_u32 v[8:9], null, s18, v10, 0
	v_mul_lo_u32 v35, s18, v11
	v_sub_co_u32 v8, vcc_lo, v49, v8
	v_add3_u32 v9, v9, v35, v34
	v_add_co_u32 v35, s16, v10, 2
	v_add_co_ci_u32_e64 v49, null, 0, v11, s16
	v_sub_nc_u32_e32 v34, v3, v9
	v_sub_co_u32 v50, s16, v8, s18
	v_sub_co_ci_u32_e64 v3, null, v3, v9, vcc_lo
	v_subrev_co_ci_u32_e64 v34, null, s19, v34, vcc_lo
	v_cmp_le_u32_e32 vcc_lo, s18, v50
	v_subrev_co_ci_u32_e64 v34, null, 0, v34, s16
	v_cndmask_b32_e64 v9, 0, -1, vcc_lo
	v_cmp_le_u32_e32 vcc_lo, s19, v34
	v_cndmask_b32_e64 v50, 0, -1, vcc_lo
	v_cmp_le_u32_e32 vcc_lo, s18, v8
	;; [unrolled: 2-line block ×3, first 2 shown]
	v_cndmask_b32_e64 v51, 0, -1, vcc_lo
	v_cmp_eq_u32_e32 vcc_lo, s19, v34
	v_cndmask_b32_e32 v9, v50, v9, vcc_lo
	v_add_co_u32 v34, vcc_lo, v10, 1
	v_add_co_ci_u32_e64 v50, null, 0, v11, vcc_lo
	v_cmp_eq_u32_e32 vcc_lo, s19, v3
	v_cndmask_b32_e32 v3, v51, v8, vcc_lo
	v_cmp_ne_u32_e32 vcc_lo, 0, v9
	v_xor_b32_e32 v9, s20, v48
	v_cmp_ne_u32_e64 s16, 0, v3
	v_cndmask_b32_e32 v3, v34, v35, vcc_lo
	v_cndmask_b32_e32 v8, v50, v49, vcc_lo
	v_cndmask_b32_e64 v3, v10, v3, s16
	v_cndmask_b32_e64 v8, v11, v8, s16
	v_xor_b32_e32 v3, v3, v9
	v_xor_b32_e32 v10, v8, v9
	v_sub_co_u32 v8, vcc_lo, v3, v9
	v_sub_co_ci_u32_e64 v9, null, v10, v9, vcc_lo
                                        ; implicit-def: $vgpr10
.LBB4_50:                               ;   in Loop: Header=BB4_47 Depth=1
	s_andn2_saveexec_b32 s16, s22
	s_cbranch_execz .LBB4_52
; %bb.51:                               ;   in Loop: Header=BB4_47 Depth=1
	v_cvt_f32_u32_e32 v3, s25
	v_rcp_iflag_f32_e32 v3, v3
	v_mul_f32_e32 v3, 0x4f7ffffe, v3
	v_cvt_u32_f32_e32 v3, v3
	v_mul_lo_u32 v8, s60, v3
	v_mul_hi_u32 v8, v3, v8
	v_add_nc_u32_e32 v3, v3, v8
	v_mul_hi_u32 v3, v10, v3
	v_mul_lo_u32 v8, v3, s25
	v_add_nc_u32_e32 v9, 1, v3
	v_sub_nc_u32_e32 v8, v10, v8
	v_subrev_nc_u32_e32 v10, s25, v8
	v_cmp_le_u32_e32 vcc_lo, s25, v8
	v_cndmask_b32_e32 v8, v8, v10, vcc_lo
	v_cndmask_b32_e32 v3, v3, v9, vcc_lo
	v_cmp_le_u32_e32 vcc_lo, s25, v8
	v_add_nc_u32_e32 v9, 1, v3
	v_cndmask_b32_e32 v8, v3, v9, vcc_lo
	v_mov_b32_e32 v9, v2
.LBB4_52:                               ;   in Loop: Header=BB4_47 Depth=1
	s_or_b32 exec_lo, exec_lo, s16
	v_add_co_u32 v3, vcc_lo, v8, 15
	v_add_co_ci_u32_e64 v35, null, 0, v9, vcc_lo
	v_and_b32_e32 v34, -16, v3
.LBB4_53:                               ;   in Loop: Header=BB4_47 Depth=1
	s_or_b32 exec_lo, exec_lo, s17
	v_mul_lo_u32 v3, v35, s43
	v_mul_lo_u32 v8, v34, s44
	v_mad_u64_u32 v[10:11], null, v34, s43, 0
	v_mov_b32_e32 v65, 0
	v_add3_u32 v11, v11, v8, v3
	v_sub_co_u32 v8, vcc_lo, v38, v10
	v_sub_co_ci_u32_e64 v9, null, v39, v11, vcc_lo
	v_cmp_lt_i64_e32 vcc_lo, v[34:35], v[8:9]
	v_cndmask_b32_e32 v8, v8, v34, vcc_lo
	v_add_co_u32 v118, vcc_lo, v28, v14
	v_add_co_ci_u32_e64 v119, null, v29, v15, vcc_lo
	v_max_i32_e32 v64, 0, v8
	v_cmp_lt_i32_e32 vcc_lo, 0, v8
	v_add_nc_u32_e32 v3, 31, v64
	s_and_b32 s16, s57, vcc_lo
	v_lshrrev_b32_e32 v3, 1, v3
	v_and_b32_e32 v9, 0x3ffffff0, v3
	v_mov_b32_e32 v3, 0
	v_max_i32_e32 v8, s45, v9
	s_and_saveexec_b32 s18, s16
	s_cbranch_execz .LBB4_195
; %bb.54:                               ;   in Loop: Header=BB4_47 Depth=1
	v_mov_b32_e32 v65, 0
	s_mov_b32 s22, 1
	s_mov_b32 s21, -1
	s_mov_b32 s19, 0
	s_branch .LBB4_57
.LBB4_55:                               ;   in Loop: Header=BB4_57 Depth=2
	s_or_b32 exec_lo, exec_lo, s17
	v_add_co_u32 v36, vcc_lo, v36, 2
	v_add_co_ci_u32_e64 v37, null, 0, v37, vcc_lo
	s_waitcnt vmcnt(0) lgkmcnt(0)
	s_waitcnt_vscnt null, 0x0
	flat_store_dwordx2 v[20:21], v[36:37]
.LBB4_56:                               ;   in Loop: Header=BB4_57 Depth=2
	s_or_b32 exec_lo, exec_lo, s16
	v_add_nc_u32_e32 v65, v8, v65
	s_xor_b32 s16, s21, -1
	v_mov_b32_e32 v3, s22
	s_mov_b32 s21, 0
	s_mov_b32 s22, 2
	v_cmp_ge_i32_e32 vcc_lo, v65, v64
	s_or_b32 s16, s16, vcc_lo
	s_and_b32 s16, exec_lo, s16
	s_or_b32 s19, s16, s19
	s_andn2_b32 exec_lo, exec_lo, s19
	s_cbranch_execz .LBB4_194
.LBB4_57:                               ;   Parent Loop BB4_47 Depth=1
                                        ; =>  This Loop Header: Depth=2
                                        ;       Child Loop BB4_65 Depth 3
                                        ;       Child Loop BB4_89 Depth 3
	;; [unrolled: 1-line block ×9, first 2 shown]
	s_and_saveexec_b32 s16, s4
	s_cbranch_execz .LBB4_59
; %bb.58:                               ;   in Loop: Header=BB4_57 Depth=2
	s_trap 2
	ds_read_b64 v[48:49], v0
	s_waitcnt lgkmcnt(0)
	v_add_co_u32 v3, vcc_lo, v48, v118
	v_add_co_ci_u32_e64 v9, null, v49, v119, vcc_lo
	v_ashrrev_i32_e32 v49, 31, v65
	v_add_co_u32 v3, vcc_lo, v3, v10
	v_add_co_ci_u32_e64 v9, null, v9, v11, vcc_lo
	v_add_co_u32 v48, vcc_lo, v3, v65
	v_add_co_ci_u32_e64 v49, null, v9, v49, vcc_lo
	v_mov_b32_e32 v3, v2
	ds_write_b64 v0, v[48:49]
	ds_write_b64 v0, v[2:3]
.LBB4_59:                               ;   in Loop: Header=BB4_57 Depth=2
	s_or_b32 exec_lo, exec_lo, s16
	v_sub_nc_u32_e32 v3, v64, v65
	v_and_b32_e32 v9, 8, v69
	s_mov_b32 s17, exec_lo
	v_min_i32_e32 v8, v8, v3
	v_cmpx_ne_u32_e32 0, v9
	s_cbranch_execz .LBB4_81
; %bb.60:                               ;   in Loop: Header=BB4_57 Depth=2
	s_waitcnt vmcnt(0) lgkmcnt(1)
	v_add_co_u32 v50, vcc_lo, v26, 8
	v_add_co_ci_u32_e64 v51, null, 0, v27, vcc_lo
	v_add_co_u32 v48, vcc_lo, v36, 2
	v_add_co_ci_u32_e64 v49, null, 0, v37, vcc_lo
	s_mov_b32 s23, exec_lo
	v_cmpx_lt_u64_e64 v[50:51], v[48:49]
	s_cbranch_execz .LBB4_72
; %bb.61:                               ;   in Loop: Header=BB4_57 Depth=2
	v_and_b32_e32 v3, 64, v69
	s_mov_b32 s61, 0
	s_mov_b32 s73, 0
                                        ; implicit-def: $sgpr62
                                        ; implicit-def: $sgpr63
                                        ; implicit-def: $sgpr72
	v_cmp_eq_u32_e32 vcc_lo, 0, v3
	s_branch .LBB4_65
.LBB4_62:                               ;   in Loop: Header=BB4_65 Depth=3
	s_waitcnt vmcnt(0) lgkmcnt(0)
	v_add_co_u32 v50, s16, v26, 8
	v_add_co_ci_u32_e64 v51, null, 0, v27, s16
	s_or_b32 s76, s76, exec_lo
	v_cmp_ge_u64_e64 s16, v[50:51], v[48:49]
	s_orn2_b32 s75, s16, exec_lo
.LBB4_63:                               ;   in Loop: Header=BB4_65 Depth=3
	s_or_b32 exec_lo, exec_lo, s78
	s_andn2_b32 s16, s72, exec_lo
	s_and_b32 s72, s76, exec_lo
	s_andn2_b32 s63, s63, exec_lo
	s_and_b32 s75, s75, exec_lo
	s_or_b32 s72, s16, s72
	s_or_b32 s63, s63, s75
.LBB4_64:                               ;   in Loop: Header=BB4_65 Depth=3
	s_or_b32 exec_lo, exec_lo, s74
	s_and_b32 s16, exec_lo, s63
	s_or_b32 s61, s16, s61
	s_andn2_b32 s16, s62, exec_lo
	s_and_b32 s62, s72, exec_lo
	s_or_b32 s62, s16, s62
	s_andn2_b32 exec_lo, exec_lo, s61
	s_cbranch_execz .LBB4_69
.LBB4_65:                               ;   Parent Loop BB4_47 Depth=1
                                        ;     Parent Loop BB4_57 Depth=2
                                        ; =>    This Inner Loop Header: Depth=3
	s_sleep 1
	s_waitcnt vmcnt(0) lgkmcnt(0)
	flat_load_dwordx2 v[26:27], v[20:21] glc dlc
	s_or_b32 s72, s72, exec_lo
	s_or_b32 s63, s63, exec_lo
                                        ; implicit-def: $vgpr3
	s_and_saveexec_b32 s74, vcc_lo
	s_cbranch_execz .LBB4_64
; %bb.66:                               ;   in Loop: Header=BB4_65 Depth=3
	s_cmpk_lt_i32 s73, 0x270f
	s_mov_b32 s75, -1
	s_cselect_b32 s77, -1, 0
	s_cmpk_gt_i32 s73, 0x270e
	s_cbranch_scc0 .LBB4_68
; %bb.67:                               ;   in Loop: Header=BB4_65 Depth=3
	s_trap 2
	ds_read_b64 v[50:51], v0
	s_andn2_b32 s73, s77, exec_lo
	s_mov_b32 s76, 0
	s_waitcnt vmcnt(0) lgkmcnt(0)
	s_waitcnt_vscnt null, 0x0
	flat_load_dword v3, v[50:51] glc dlc
	s_waitcnt vmcnt(0) lgkmcnt(0)
	buffer_gl1_inv
	buffer_gl0_inv
	v_cmp_eq_u32_e64 s16, 0, v3
	s_and_b32 s16, s16, exec_lo
	s_or_b32 s77, s73, s16
	s_mov_b32 s73, 0
	s_and_saveexec_b32 s78, s77
	s_cbranch_execz .LBB4_63
	s_branch .LBB4_62
.LBB4_68:                               ;   in Loop: Header=BB4_65 Depth=3
	s_add_i32 s73, s73, 1
	s_mov_b32 s76, -1
                                        ; implicit-def: $vgpr3
	s_and_saveexec_b32 s78, s77
	s_cbranch_execz .LBB4_63
	s_branch .LBB4_62
.LBB4_69:                               ;   in Loop: Header=BB4_57 Depth=2
	s_or_b32 exec_lo, exec_lo, s61
	s_xor_b32 s16, s62, -1
	s_and_saveexec_b32 s61, s16
	s_xor_b32 s16, exec_lo, s61
	s_cbranch_execz .LBB4_71
; %bb.70:                               ;   in Loop: Header=BB4_57 Depth=2
	v_or_b32_e32 v69, 64, v69
	s_waitcnt vmcnt(0) lgkmcnt(0)
	s_waitcnt_vscnt null, 0x0
	ds_write_b32 v0, v3
	s_trap 2
.LBB4_71:                               ;   in Loop: Header=BB4_57 Depth=2
	s_or_b32 exec_lo, exec_lo, s16
.LBB4_72:                               ;   in Loop: Header=BB4_57 Depth=2
	s_or_b32 exec_lo, exec_lo, s23
	v_and_b32_e32 v3, 0x100, v69
	s_mov_b32 s16, -1
	;;#ASMSTART
	s_wakeup
	;;#ASMEND
	v_cmp_ne_u32_e32 vcc_lo, 0, v3
	v_and_b32_e32 v3, 7, v36
                                        ; implicit-def: $vgpr36_vgpr37
	s_and_saveexec_b32 s23, vcc_lo
	s_cbranch_execz .LBB4_76
; %bb.73:                               ;   in Loop: Header=BB4_57 Depth=2
	v_mad_u64_u32 v[50:51], null, v3, 24, v[6:7]
	v_ashrrev_i32_e32 v9, 31, v8
	flat_load_dword v36, v[50:51]
	flat_store_dwordx2 v[50:51], v[8:9] offset:8
	s_waitcnt vmcnt(0) lgkmcnt(1)
	v_cmp_eq_u32_e64 s16, 1, v36
	v_cmp_ne_u32_e32 vcc_lo, 1, v36
                                        ; implicit-def: $vgpr36_vgpr37
	s_and_saveexec_b32 s61, s16
	s_cbranch_execz .LBB4_75
; %bb.74:                               ;   in Loop: Header=BB4_57 Depth=2
	flat_load_dword v36, v[50:51] offset:4 glc dlc
	s_waitcnt vmcnt(0) lgkmcnt(0)
	v_ashrrev_i32_e32 v37, 31, v36
.LBB4_75:                               ;   in Loop: Header=BB4_57 Depth=2
	s_or_b32 exec_lo, exec_lo, s61
	s_orn2_b32 s16, vcc_lo, exec_lo
.LBB4_76:                               ;   in Loop: Header=BB4_57 Depth=2
	s_or_b32 exec_lo, exec_lo, s23
	s_and_saveexec_b32 s23, s16
; %bb.77:                               ;   in Loop: Header=BB4_57 Depth=2
	v_mad_i64_i32 v[36:37], null, v3, v70, 0
; %bb.78:                               ;   in Loop: Header=BB4_57 Depth=2
	s_or_b32 exec_lo, exec_lo, s23
	v_add_co_u32 v36, vcc_lo, v22, v36
	v_and_b32_e32 v3, 0x2000, v69
	v_add_co_ci_u32_e64 v37, null, v23, v37, vcc_lo
	s_mov_b32 s16, exec_lo
	ds_write_b64 v0, v[36:37] offset:784
	v_cmpx_ne_u32_e32 0, v3
	s_cbranch_execz .LBB4_80
; %bb.79:                               ;   in Loop: Header=BB4_57 Depth=2
	ds_read_b64 v[36:37], v0 offset:872
	s_waitcnt lgkmcnt(0)
	v_add_co_u32 v36, vcc_lo, v36, 1
	v_add_co_ci_u32_e64 v37, null, 0, v37, vcc_lo
	ds_write_b64 v0, v[36:37] offset:872
.LBB4_80:                               ;   in Loop: Header=BB4_57 Depth=2
	s_or_b32 exec_lo, exec_lo, s16
	v_mov_b32_e32 v36, v48
	v_mov_b32_e32 v37, v49
.LBB4_81:                               ;   in Loop: Header=BB4_57 Depth=2
	s_or_b32 exec_lo, exec_lo, s17
	s_and_saveexec_b32 s16, s6
	s_cbranch_execz .LBB4_100
; %bb.82:                               ;   in Loop: Header=BB4_57 Depth=2
	s_and_saveexec_b32 s17, s29
	s_xor_b32 s17, exec_lo, s17
	s_cbranch_execz .LBB4_97
; %bb.83:                               ;   in Loop: Header=BB4_57 Depth=2
	s_and_saveexec_b32 s23, s11
	s_cbranch_execz .LBB4_96
; %bb.84:                               ;   in Loop: Header=BB4_57 Depth=2
	s_mov_b32 s62, exec_lo
	s_mov_b32 s61, exec_lo
	v_mbcnt_lo_u32_b32 v3, s62, 0
	s_waitcnt vmcnt(0) lgkmcnt(0)
	s_waitcnt_vscnt null, 0x0
	buffer_gl1_inv
	buffer_gl0_inv
	v_cmpx_eq_u32_e32 0, v3
	s_cbranch_execz .LBB4_86
; %bb.85:                               ;   in Loop: Header=BB4_57 Depth=2
	s_bcnt1_i32_b32 s62, s62
	v_mov_b32_e32 v49, v2
	v_mov_b32_e32 v48, s62
	ds_add_u64 v0, v[48:49]
	s_trap 2
.LBB4_86:                               ;   in Loop: Header=BB4_57 Depth=2
	s_or_b32 exec_lo, exec_lo, s61
	s_trap 2
	ds_read_b64 v[48:49], v0
	s_waitcnt lgkmcnt(0)
	buffer_gl0_inv
	v_add_co_u32 v12, vcc_lo, v12, v71
	v_add_co_ci_u32_e64 v13, null, 0, v13, vcc_lo
	s_mov_b32 s61, exec_lo
	v_cmpx_lt_u64_e64 v[48:49], v[12:13]
	s_cbranch_execz .LBB4_95
; %bb.87:                               ;   in Loop: Header=BB4_57 Depth=2
	s_mov_b32 s62, 0
	s_mov_b32 s73, 0
                                        ; implicit-def: $sgpr63
                                        ; implicit-def: $sgpr72
	s_inst_prefetch 0x1
	s_branch .LBB4_89
	.p2align	6
.LBB4_88:                               ;   in Loop: Header=BB4_89 Depth=3
	s_or_b32 exec_lo, exec_lo, s75
	s_and_b32 s74, exec_lo, s76
	s_or_b32 s62, s74, s62
	s_andn2_b32 s63, s63, exec_lo
	s_and_b32 s74, s72, exec_lo
	s_or_b32 s63, s63, s74
	s_andn2_b32 exec_lo, exec_lo, s62
	s_cbranch_execz .LBB4_93
.LBB4_89:                               ;   Parent Loop BB4_47 Depth=1
                                        ;     Parent Loop BB4_57 Depth=2
                                        ; =>    This Inner Loop Header: Depth=3
	s_add_i32 s73, s73, 1
	s_cmpk_lg_i32 s73, 0x2710
	s_cselect_b32 s74, -1, 0
	s_and_b32 vcc_lo, exec_lo, s74
	s_cbranch_vccz .LBB4_91
; %bb.90:                               ;   in Loop: Header=BB4_89 Depth=3
	s_mov_b32 s76, -1
	s_or_b32 s72, s72, exec_lo
	s_and_saveexec_b32 s75, s74
	s_cbranch_execz .LBB4_88
	s_branch .LBB4_92
	.p2align	6
.LBB4_91:                               ;   in Loop: Header=BB4_89 Depth=3
	s_trap 2
	ds_read_b64 v[48:49], v0
	s_andn2_b32 s74, s74, exec_lo
	s_mov_b32 s73, 0
	s_waitcnt lgkmcnt(0)
	flat_load_dword v3, v[48:49] glc dlc
	s_waitcnt vmcnt(0) lgkmcnt(0)
	buffer_gl1_inv
	buffer_gl0_inv
	v_cmp_eq_u32_e32 vcc_lo, 0, v3
	s_and_b32 s75, vcc_lo, exec_lo
	s_or_b32 s74, s74, s75
	s_mov_b32 s76, -1
	s_or_b32 s72, s72, exec_lo
	s_and_saveexec_b32 s75, s74
	s_cbranch_execz .LBB4_88
.LBB4_92:                               ;   in Loop: Header=BB4_89 Depth=3
	s_sleep 1
	s_trap 2
	ds_read_b64 v[48:49], v0
	s_waitcnt lgkmcnt(0)
	buffer_gl0_inv
	s_andn2_b32 s72, s72, exec_lo
	v_cmp_ge_u64_e32 vcc_lo, v[48:49], v[12:13]
	s_orn2_b32 s76, vcc_lo, exec_lo
	s_branch .LBB4_88
.LBB4_93:                               ;   in Loop: Header=BB4_57 Depth=2
	s_inst_prefetch 0x2
	s_or_b32 exec_lo, exec_lo, s62
	s_and_saveexec_b32 s62, s63
	s_xor_b32 s62, exec_lo, s62
	s_cbranch_execz .LBB4_95
; %bb.94:                               ;   in Loop: Header=BB4_57 Depth=2
	ds_write_b32 v0, v81
	s_trap 2
.LBB4_95:                               ;   in Loop: Header=BB4_57 Depth=2
	s_or_b32 exec_lo, exec_lo, s61
	;;#ASMSTART
	s_wakeup
	;;#ASMEND
.LBB4_96:                               ;   in Loop: Header=BB4_57 Depth=2
	s_or_b32 exec_lo, exec_lo, s23
.LBB4_97:                               ;   in Loop: Header=BB4_57 Depth=2
	s_andn2_saveexec_b32 s17, s17
	s_cbranch_execz .LBB4_99
; %bb.98:                               ;   in Loop: Header=BB4_57 Depth=2
	s_waitcnt vmcnt(0) lgkmcnt(0)
	s_waitcnt_vscnt null, 0x0
	buffer_gl1_inv
	buffer_gl0_inv
	s_barrier
.LBB4_99:                               ;   in Loop: Header=BB4_57 Depth=2
	s_or_b32 exec_lo, exec_lo, s17
.LBB4_100:                              ;   in Loop: Header=BB4_57 Depth=2
	s_or_b32 exec_lo, exec_lo, s16
	s_trap 2
	ds_read_b32 v3, v0
	v_and_b32_e32 v9, 0x4000, v69
	s_xor_b32 s16, s5, -1
	v_cmp_ne_u32_e32 vcc_lo, 0, v9
	s_and_b32 s17, s16, vcc_lo
	s_and_saveexec_b32 s16, s17
	s_cbranch_execz .LBB4_119
; %bb.101:                              ;   in Loop: Header=BB4_57 Depth=2
	s_and_saveexec_b32 s17, s29
	s_xor_b32 s17, exec_lo, s17
	s_cbranch_execz .LBB4_116
; %bb.102:                              ;   in Loop: Header=BB4_57 Depth=2
	s_and_saveexec_b32 s23, s11
	s_cbranch_execz .LBB4_115
; %bb.103:                              ;   in Loop: Header=BB4_57 Depth=2
	s_mov_b32 s62, exec_lo
	s_mov_b32 s61, exec_lo
	v_mbcnt_lo_u32_b32 v9, s62, 0
	s_waitcnt vmcnt(0) lgkmcnt(0)
	s_waitcnt_vscnt null, 0x0
	buffer_gl1_inv
	buffer_gl0_inv
	v_cmpx_eq_u32_e32 0, v9
	s_cbranch_execz .LBB4_105
; %bb.104:                              ;   in Loop: Header=BB4_57 Depth=2
	s_bcnt1_i32_b32 s62, s62
	v_mov_b32_e32 v49, v2
	v_mov_b32_e32 v48, s62
	ds_add_u64 v0, v[48:49]
	s_trap 2
.LBB4_105:                              ;   in Loop: Header=BB4_57 Depth=2
	s_or_b32 exec_lo, exec_lo, s61
	s_trap 2
	ds_read_b64 v[48:49], v0
	s_waitcnt lgkmcnt(0)
	buffer_gl0_inv
	v_add_co_u32 v12, vcc_lo, v12, v71
	v_add_co_ci_u32_e64 v13, null, 0, v13, vcc_lo
	s_mov_b32 s61, exec_lo
	v_cmpx_lt_u64_e64 v[48:49], v[12:13]
	s_cbranch_execz .LBB4_114
; %bb.106:                              ;   in Loop: Header=BB4_57 Depth=2
	s_mov_b32 s62, 0
	s_mov_b32 s73, 0
                                        ; implicit-def: $sgpr63
                                        ; implicit-def: $sgpr72
	s_inst_prefetch 0x1
	s_branch .LBB4_108
	.p2align	6
.LBB4_107:                              ;   in Loop: Header=BB4_108 Depth=3
	s_or_b32 exec_lo, exec_lo, s75
	s_and_b32 s74, exec_lo, s76
	s_or_b32 s62, s74, s62
	s_andn2_b32 s63, s63, exec_lo
	s_and_b32 s74, s72, exec_lo
	s_or_b32 s63, s63, s74
	s_andn2_b32 exec_lo, exec_lo, s62
	s_cbranch_execz .LBB4_112
.LBB4_108:                              ;   Parent Loop BB4_47 Depth=1
                                        ;     Parent Loop BB4_57 Depth=2
                                        ; =>    This Inner Loop Header: Depth=3
	s_add_i32 s73, s73, 1
	s_cmpk_lg_i32 s73, 0x2710
	s_cselect_b32 s74, -1, 0
	s_and_b32 vcc_lo, exec_lo, s74
	s_cbranch_vccz .LBB4_110
; %bb.109:                              ;   in Loop: Header=BB4_108 Depth=3
	s_mov_b32 s76, -1
	s_or_b32 s72, s72, exec_lo
	s_and_saveexec_b32 s75, s74
	s_cbranch_execz .LBB4_107
	s_branch .LBB4_111
	.p2align	6
.LBB4_110:                              ;   in Loop: Header=BB4_108 Depth=3
	s_trap 2
	ds_read_b64 v[48:49], v0
	s_andn2_b32 s74, s74, exec_lo
	s_mov_b32 s73, 0
	s_waitcnt lgkmcnt(0)
	flat_load_dword v9, v[48:49] glc dlc
	s_waitcnt vmcnt(0) lgkmcnt(0)
	buffer_gl1_inv
	buffer_gl0_inv
	v_cmp_eq_u32_e32 vcc_lo, 0, v9
	s_and_b32 s75, vcc_lo, exec_lo
	s_or_b32 s74, s74, s75
	s_mov_b32 s76, -1
	s_or_b32 s72, s72, exec_lo
	s_and_saveexec_b32 s75, s74
	s_cbranch_execz .LBB4_107
.LBB4_111:                              ;   in Loop: Header=BB4_108 Depth=3
	s_sleep 1
	s_trap 2
	ds_read_b64 v[48:49], v0
	s_waitcnt lgkmcnt(0)
	buffer_gl0_inv
	s_andn2_b32 s72, s72, exec_lo
	v_cmp_ge_u64_e32 vcc_lo, v[48:49], v[12:13]
	s_orn2_b32 s76, vcc_lo, exec_lo
	s_branch .LBB4_107
.LBB4_112:                              ;   in Loop: Header=BB4_57 Depth=2
	s_inst_prefetch 0x2
	s_or_b32 exec_lo, exec_lo, s62
	s_and_saveexec_b32 s62, s63
	s_xor_b32 s62, exec_lo, s62
	s_cbranch_execz .LBB4_114
; %bb.113:                              ;   in Loop: Header=BB4_57 Depth=2
	ds_write_b32 v0, v81
	s_trap 2
.LBB4_114:                              ;   in Loop: Header=BB4_57 Depth=2
	s_or_b32 exec_lo, exec_lo, s61
	;;#ASMSTART
	s_wakeup
	;;#ASMEND
.LBB4_115:                              ;   in Loop: Header=BB4_57 Depth=2
	s_or_b32 exec_lo, exec_lo, s23
.LBB4_116:                              ;   in Loop: Header=BB4_57 Depth=2
	s_andn2_saveexec_b32 s17, s17
	s_cbranch_execz .LBB4_118
; %bb.117:                              ;   in Loop: Header=BB4_57 Depth=2
	s_waitcnt vmcnt(0) lgkmcnt(0)
	s_waitcnt_vscnt null, 0x0
	buffer_gl1_inv
	buffer_gl0_inv
	s_barrier
.LBB4_118:                              ;   in Loop: Header=BB4_57 Depth=2
	s_or_b32 exec_lo, exec_lo, s17
.LBB4_119:                              ;   in Loop: Header=BB4_57 Depth=2
	s_or_b32 exec_lo, exec_lo, s16
	s_trap 2
	ds_read_b64 v[48:49], v0
	s_waitcnt lgkmcnt(0)
	v_cmp_eq_u64_e32 vcc_lo, 0, v[48:49]
	s_cbranch_vccnz .LBB4_127
; %bb.120:                              ;   in Loop: Header=BB4_57 Depth=2
	s_trap 2
	ds_read_b64 v[50:51], v0
	s_waitcnt lgkmcnt(0)
	v_cmp_eq_u64_e32 vcc_lo, 0, v[50:51]
	s_cbranch_vccnz .LBB4_127
; %bb.121:                              ;   in Loop: Header=BB4_57 Depth=2
	s_mov_b32 s16, -1
	s_and_saveexec_b32 s17, s12
	s_cbranch_execz .LBB4_123
; %bb.122:                              ;   in Loop: Header=BB4_57 Depth=2
	ds_read_b32 v9, v0 offset:720
	s_waitcnt lgkmcnt(0)
	v_and_b32_e32 v9, 15, v9
	v_cmp_eq_u32_e32 vcc_lo, 0, v9
	s_orn2_b32 s16, vcc_lo, exec_lo
.LBB4_123:                              ;   in Loop: Header=BB4_57 Depth=2
	s_or_b32 exec_lo, exec_lo, s17
	s_and_saveexec_b32 s17, s14
	s_cbranch_execz .LBB4_125
; %bb.124:                              ;   in Loop: Header=BB4_57 Depth=2
	ds_read_b32 v9, v0 offset:784
	s_waitcnt lgkmcnt(0)
	v_and_b32_e32 v9, 15, v9
	v_cmp_eq_u32_e32 vcc_lo, 0, v9
	s_and_b32 s23, s16, vcc_lo
	s_andn2_b32 s16, s16, exec_lo
	s_and_b32 s23, s23, exec_lo
	s_or_b32 s16, s16, s23
.LBB4_125:                              ;   in Loop: Header=BB4_57 Depth=2
	s_or_b32 exec_lo, exec_lo, s17
	v_cmp_eq_u32_e32 vcc_lo, 0, v3
	s_xor_b32 s16, s16, -1
	v_mov_b32_e32 v53, v0
	v_cndmask_b32_e64 v9, 0, 1, s16
	v_mov_b32_e32 v41, v99
	v_cndmask_b32_e32 v3, 0, v8, vcc_lo
	s_mov_b32 s16, -1
	v_cmp_ne_u32_e32 vcc_lo, 0, v9
	v_mov_b32_e32 v9, 0
	v_mov_b32_e32 v52, v3
	s_cbranch_vccz .LBB4_132
; %bb.126:                              ;   in Loop: Header=BB4_57 Depth=2
	s_and_saveexec_b32 s17, s16
	s_cbranch_execnz .LBB4_145
	s_branch .LBB4_153
.LBB4_127:                              ;   in Loop: Header=BB4_57 Depth=2
	s_mov_b32 s16, 0
	s_and_saveexec_b32 s17, s6
	s_cbranch_execnz .LBB4_154
.LBB4_128:                              ;   in Loop: Header=BB4_57 Depth=2
	s_or_b32 exec_lo, exec_lo, s17
                                        ; implicit-def: $vgpr3
	s_and_saveexec_b32 s17, s13
	s_xor_b32 s17, exec_lo, s17
	s_cbranch_execz .LBB4_172
.LBB4_129:                              ;   in Loop: Header=BB4_57 Depth=2
	v_and_b32_e32 v3, 16, v69
	v_cmp_ne_u32_e32 vcc_lo, 0, v3
	v_and_b32_e32 v3, 16, v69
	s_and_b32 s23, vcc_lo, s16
	s_and_saveexec_b32 s16, s23
	s_cbranch_execz .LBB4_131
; %bb.130:                              ;   in Loop: Header=BB4_57 Depth=2
	v_mov_b32_e32 v3, 1
	s_waitcnt vmcnt(0) lgkmcnt(0)
	s_waitcnt_vscnt null, 0x0
	buffer_gl1_inv
	buffer_gl0_inv
.LBB4_131:                              ;   in Loop: Header=BB4_57 Depth=2
	s_or_b32 exec_lo, exec_lo, s16
	s_andn2_saveexec_b32 s16, s17
	s_cbranch_execz .LBB4_191
	s_branch .LBB4_173
.LBB4_132:                              ;   in Loop: Header=BB4_57 Depth=2
	v_ashrrev_i32_e32 v9, 31, v3
	s_mov_b32 s17, exec_lo
	v_lshrrev_b32_e32 v9, 21, v9
	v_add_nc_u32_e32 v9, v3, v9
	v_ashrrev_i32_e32 v9, 11, v9
	v_sub_nc_u32_e32 v66, v9, v99
	v_cmpx_lt_i32_e32 0, v66
	s_cbranch_execz .LBB4_136
; %bb.133:                              ;   in Loop: Header=BB4_57 Depth=2
	v_mov_b32_e32 v53, v51
	v_mov_b32_e32 v55, v49
	;; [unrolled: 1-line block ×4, first 2 shown]
	s_mov_b32 s23, 0
	s_inst_prefetch 0x1
	.p2align	6
.LBB4_134:                              ;   Parent Loop BB4_47 Depth=1
                                        ;     Parent Loop BB4_57 Depth=2
                                        ; =>    This Inner Loop Header: Depth=3
	v_add_co_u32 v60, vcc_lo, v112, v54
	v_add_co_ci_u32_e64 v61, null, v116, v55, vcc_lo
	v_sub_nc_u32_e32 v66, v66, v71
	v_add_co_u32 v72, vcc_lo, v112, v52
	s_clause 0x3
	global_load_dwordx4 v[40:43], v[60:61], off slc
	global_load_dwordx4 v[44:47], v[60:61], off offset:512 slc
	global_load_dwordx4 v[56:59], v[60:61], off offset:1024 slc
	;; [unrolled: 1-line block ×3, first 2 shown]
	v_add_co_ci_u32_e64 v73, null, v116, v53, vcc_lo
	v_add_co_u32 v54, vcc_lo, v54, v85
	v_add_co_ci_u32_e64 v55, null, 0, v55, vcc_lo
	v_add_co_u32 v52, vcc_lo, v52, v85
	v_cmp_gt_i32_e64 s16, 1, v66
	v_add_co_ci_u32_e64 v53, null, 0, v53, vcc_lo
	s_waitcnt vmcnt(3)
	global_store_dwordx4 v[72:73], v[40:43], off glc slc
	s_waitcnt vmcnt(2)
	global_store_dwordx4 v[72:73], v[44:47], off offset:512 glc slc
	s_waitcnt vmcnt(1)
	global_store_dwordx4 v[72:73], v[56:59], off offset:1024 glc slc
	;; [unrolled: 2-line block ×3, first 2 shown]
	s_or_b32 s23, s16, s23
	s_andn2_b32 exec_lo, exec_lo, s23
	s_cbranch_execnz .LBB4_134
; %bb.135:                              ;   in Loop: Header=BB4_57 Depth=2
	s_inst_prefetch 0x2
	s_or_b32 exec_lo, exec_lo, s23
.LBB4_136:                              ;   in Loop: Header=BB4_57 Depth=2
	s_or_b32 exec_lo, exec_lo, s17
	v_lshlrev_b32_e32 v54, 11, v9
	v_mov_b32_e32 v9, 0
	s_mov_b32 s16, 0
	s_mov_b32 s23, exec_lo
                                        ; implicit-def: $vgpr52
                                        ; implicit-def: $vgpr53
                                        ; implicit-def: $vgpr41
	v_cmpx_ne_u32_e64 v3, v54
	s_cbranch_execz .LBB4_144
; %bb.137:                              ;   in Loop: Header=BB4_57 Depth=2
	v_lshlrev_b32_e32 v9, 5, v66
	v_sub_nc_u32_e32 v53, v3, v54
	s_mov_b32 s61, exec_lo
	v_sub_nc_u32_e32 v9, v101, v9
	v_ashrrev_i32_e32 v55, 31, v53
	v_ashrrev_i32_e32 v52, 31, v9
	v_lshrrev_b32_e32 v55, 23, v55
	v_lshrrev_b32_e32 v52, 27, v52
	v_add_nc_u32_e32 v40, v53, v55
	v_add_nc_u32_e32 v52, v9, v52
	v_and_b32_e32 v55, 0xfffffe00, v40
	v_ashrrev_i32_e32 v40, 9, v40
	v_and_b32_e32 v66, 0xffffffe0, v52
	v_sub_nc_u32_e32 v67, v53, v55
	v_ashrrev_i32_e32 v41, 5, v52
	v_sub_nc_u32_e32 v66, v9, v66
	v_cmp_lt_i32_e32 vcc_lo, 15, v67
	v_lshlrev_b32_e32 v9, 4, v66
	v_add_co_ci_u32_e64 v40, null, 0, v40, vcc_lo
	v_lshl_add_u32 v52, v41, 9, v9
	v_sub_nc_u32_e32 v40, v40, v41
	v_sub_nc_u32_e32 v9, v53, v52
	v_cmpx_lt_i32_e32 15, v9
	s_cbranch_execz .LBB4_141
; %bb.138:                              ;   in Loop: Header=BB4_57 Depth=2
	v_add_nc_u32_e32 v52, v52, v54
	s_mov_b32 s62, 0
	v_ashrrev_i32_e32 v53, 31, v52
	.p2align	6
.LBB4_139:                              ;   Parent Loop BB4_47 Depth=1
                                        ;     Parent Loop BB4_57 Depth=2
                                        ; =>    This Inner Loop Header: Depth=3
	v_add_co_u32 v41, s16, v48, v52
	v_add_co_ci_u32_e64 v42, null, v49, v53, s16
	v_sub_nc_u32_e32 v9, v9, v86
	v_add_co_u32 v45, s16, v50, v52
	global_load_dwordx4 v[41:44], v[41:42], off slc
	v_add_co_ci_u32_e64 v46, null, v51, v53, s16
	v_cmp_gt_i32_e64 s16, 16, v9
	v_add_co_u32 v52, s17, v52, v86
	v_sub_nc_u32_e32 v40, v40, v71
	v_add_co_ci_u32_e64 v53, null, 0, v53, s17
	s_or_b32 s62, s16, s62
	s_waitcnt vmcnt(0)
	global_store_dwordx4 v[45:46], v[41:44], off glc slc
	s_andn2_b32 exec_lo, exec_lo, s62
	s_cbranch_execnz .LBB4_139
; %bb.140:                              ;   in Loop: Header=BB4_57 Depth=2
	s_or_b32 exec_lo, exec_lo, s62
.LBB4_141:                              ;   in Loop: Header=BB4_57 Depth=2
	s_or_b32 exec_lo, exec_lo, s61
	v_and_b32_e32 v42, 15, v3
	v_mov_b32_e32 v9, 0
	s_mov_b32 s17, 0
	s_mov_b32 s61, exec_lo
                                        ; implicit-def: $vgpr53
                                        ; implicit-def: $vgpr41
	v_cndmask_b32_e32 v52, v67, v42, vcc_lo
	v_cmpx_ne_u32_e32 0, v52
	s_cbranch_execz .LBB4_143
; %bb.142:                              ;   in Loop: Header=BB4_57 Depth=2
	v_cmp_lt_i32_e64 s16, 0, v40
	s_mov_b32 s17, exec_lo
	v_cndmask_b32_e64 v9, 0, v71, s16
	v_sub_nc_u32_e32 v9, v9, v40
	v_lshl_add_u32 v53, v9, 5, v66
	v_sub_nc_u32_e32 v66, v67, v42
	v_ashrrev_i32_e32 v9, 31, v53
	v_cndmask_b32_e32 v66, 0, v66, vcc_lo
	v_lshrrev_b32_e32 v9, 27, v9
	v_add_nc_u32_e32 v67, v53, v9
	v_add3_u32 v9, v55, v54, v66
	v_ashrrev_i32_e32 v41, 5, v67
.LBB4_143:                              ;   in Loop: Header=BB4_57 Depth=2
	s_or_b32 exec_lo, exec_lo, s61
	s_and_b32 s16, s17, exec_lo
.LBB4_144:                              ;   in Loop: Header=BB4_57 Depth=2
	s_or_b32 exec_lo, exec_lo, s23
	s_and_saveexec_b32 s17, s16
	s_cbranch_execz .LBB4_153
.LBB4_145:                              ;   in Loop: Header=BB4_57 Depth=2
	v_ashrrev_i32_e32 v54, 31, v52
	v_ashrrev_i32_e32 v55, 31, v53
	s_mov_b32 s16, exec_lo
	v_lshrrev_b32_e32 v54, 23, v54
	v_lshrrev_b32_e32 v55, 27, v55
	v_add_nc_u32_e32 v54, v52, v54
	v_ashrrev_i32_e32 v66, 9, v54
	v_sub_nc_u32_e32 v54, v66, v41
	v_cmpx_lt_i32_e32 0, v54
	s_cbranch_execz .LBB4_149
; %bb.146:                              ;   in Loop: Header=BB4_57 Depth=2
	v_add_nc_u32_e32 v67, v53, v55
	v_lshlrev_b32_e32 v40, 9, v41
	s_mov_b32 s23, 0
	v_and_b32_e32 v67, 0xffffffe0, v67
	v_sub_nc_u32_e32 v67, v53, v67
	v_add3_u32 v67, v9, v67, v40
	v_ashrrev_i32_e32 v40, 31, v67
.LBB4_147:                              ;   Parent Loop BB4_47 Depth=1
                                        ;     Parent Loop BB4_57 Depth=2
                                        ; =>    This Inner Loop Header: Depth=3
	v_add_co_u32 v41, vcc_lo, v67, v48
	v_add_co_ci_u32_e64 v42, null, v40, v49, vcc_lo
	v_sub_nc_u32_e32 v54, v54, v71
	s_clause 0xf
	flat_load_ubyte v43, v[41:42] slc
	flat_load_ubyte v44, v[41:42] offset:32 slc
	flat_load_ubyte v45, v[41:42] offset:64 slc
	;; [unrolled: 1-line block ×15, first 2 shown]
	v_add_co_u32 v41, vcc_lo, v67, v50
	v_add_co_ci_u32_e64 v42, null, v40, v51, vcc_lo
	v_add_co_u32 v48, vcc_lo, v48, v86
	v_add_co_ci_u32_e64 v49, null, 0, v49, vcc_lo
	;; [unrolled: 2-line block ×3, first 2 shown]
	v_cmp_gt_i32_e32 vcc_lo, 1, v54
	s_waitcnt vmcnt(15) lgkmcnt(15)
	flat_store_byte v[41:42], v43 glc slc
	s_waitcnt vmcnt(14) lgkmcnt(15)
	flat_store_byte v[41:42], v44 offset:32 glc slc
	s_waitcnt vmcnt(13) lgkmcnt(15)
	flat_store_byte v[41:42], v45 offset:64 glc slc
	;; [unrolled: 2-line block ×15, first 2 shown]
	s_or_b32 s23, vcc_lo, s23
	s_andn2_b32 exec_lo, exec_lo, s23
	s_cbranch_execnz .LBB4_147
; %bb.148:                              ;   in Loop: Header=BB4_57 Depth=2
	s_or_b32 exec_lo, exec_lo, s23
.LBB4_149:                              ;   in Loop: Header=BB4_57 Depth=2
	s_or_b32 exec_lo, exec_lo, s16
	v_lshlrev_b32_e32 v48, 9, v66
	v_cmp_ne_u32_e32 vcc_lo, v52, v48
	s_and_b32 exec_lo, exec_lo, vcc_lo
	s_cbranch_execz .LBB4_153
; %bb.150:                              ;   in Loop: Header=BB4_57 Depth=2
	v_add_nc_u32_e32 v49, v53, v55
	v_lshlrev_b32_e32 v50, 5, v54
	v_and_b32_e32 v49, 0xffffffe0, v49
	v_sub_nc_u32_e32 v49, v53, v49
	v_sub_nc_u32_e32 v49, v49, v50
	v_add_nc_u32_e32 v51, v48, v49
	v_sub_nc_u32_e32 v50, v52, v51
	v_cmp_lt_i32_e32 vcc_lo, 0, v50
	s_and_b32 exec_lo, exec_lo, vcc_lo
	s_cbranch_execz .LBB4_153
; %bb.151:                              ;   in Loop: Header=BB4_57 Depth=2
	s_trap 2
	ds_read_b64 v[48:49], v0
	v_add_nc_u32_e32 v9, v51, v9
	s_mov_b32 s23, 0
	v_ashrrev_i32_e32 v51, 31, v9
	.p2align	6
.LBB4_152:                              ;   Parent Loop BB4_47 Depth=1
                                        ;     Parent Loop BB4_57 Depth=2
                                        ; =>    This Inner Loop Header: Depth=3
	s_waitcnt lgkmcnt(0)
	v_add_co_u32 v52, vcc_lo, v48, v9
	v_add_co_ci_u32_e64 v53, null, v49, v51, vcc_lo
	v_sub_nc_u32_e32 v50, v50, v80
	v_add_co_u32 v9, s16, v9, v80
	flat_load_ubyte v54, v[52:53] slc
	v_add_co_ci_u32_e64 v51, null, 0, v51, s16
	v_cmp_gt_i32_e32 vcc_lo, 1, v50
	s_or_b32 s23, vcc_lo, s23
	s_waitcnt vmcnt(0) lgkmcnt(0)
	flat_store_byte v[52:53], v54 glc slc
	s_andn2_b32 exec_lo, exec_lo, s23
	s_cbranch_execnz .LBB4_152
.LBB4_153:                              ;   in Loop: Header=BB4_57 Depth=2
	s_or_b32 exec_lo, exec_lo, s17
	v_cmp_lt_i32_e64 s16, 0, v3
	s_and_saveexec_b32 s17, s6
	s_cbranch_execz .LBB4_128
.LBB4_154:                              ;   in Loop: Header=BB4_57 Depth=2
	s_and_saveexec_b32 s23, s29
	s_xor_b32 s23, exec_lo, s23
	s_cbranch_execz .LBB4_169
; %bb.155:                              ;   in Loop: Header=BB4_57 Depth=2
	s_and_saveexec_b32 s61, s11
	s_cbranch_execz .LBB4_168
; %bb.156:                              ;   in Loop: Header=BB4_57 Depth=2
	s_mov_b32 s63, exec_lo
	s_mov_b32 s62, exec_lo
	v_mbcnt_lo_u32_b32 v3, s63, 0
	s_waitcnt vmcnt(0) lgkmcnt(0)
	s_waitcnt_vscnt null, 0x0
	buffer_gl1_inv
	buffer_gl0_inv
	v_cmpx_eq_u32_e32 0, v3
	s_cbranch_execz .LBB4_158
; %bb.157:                              ;   in Loop: Header=BB4_57 Depth=2
	s_bcnt1_i32_b32 s63, s63
	v_mov_b32_e32 v49, v2
	v_mov_b32_e32 v48, s63
	ds_add_u64 v0, v[48:49]
	s_trap 2
.LBB4_158:                              ;   in Loop: Header=BB4_57 Depth=2
	s_or_b32 exec_lo, exec_lo, s62
	s_trap 2
	ds_read_b64 v[48:49], v0
	s_waitcnt lgkmcnt(0)
	buffer_gl0_inv
	v_add_co_u32 v12, vcc_lo, v12, v71
	v_add_co_ci_u32_e64 v13, null, 0, v13, vcc_lo
	s_mov_b32 s62, exec_lo
	v_cmpx_lt_u64_e64 v[48:49], v[12:13]
	s_cbranch_execz .LBB4_167
; %bb.159:                              ;   in Loop: Header=BB4_57 Depth=2
	s_mov_b32 s63, 0
	s_mov_b32 s74, 0
                                        ; implicit-def: $sgpr72
                                        ; implicit-def: $sgpr73
	s_inst_prefetch 0x1
	s_branch .LBB4_161
	.p2align	6
.LBB4_160:                              ;   in Loop: Header=BB4_161 Depth=3
	s_or_b32 exec_lo, exec_lo, s76
	s_and_b32 s75, exec_lo, s77
	s_or_b32 s63, s75, s63
	s_andn2_b32 s72, s72, exec_lo
	s_and_b32 s75, s73, exec_lo
	s_or_b32 s72, s72, s75
	s_andn2_b32 exec_lo, exec_lo, s63
	s_cbranch_execz .LBB4_165
.LBB4_161:                              ;   Parent Loop BB4_47 Depth=1
                                        ;     Parent Loop BB4_57 Depth=2
                                        ; =>    This Inner Loop Header: Depth=3
	s_add_i32 s74, s74, 1
	s_cmpk_lg_i32 s74, 0x2710
	s_cselect_b32 s75, -1, 0
	s_and_b32 vcc_lo, exec_lo, s75
	s_cbranch_vccz .LBB4_163
; %bb.162:                              ;   in Loop: Header=BB4_161 Depth=3
	s_mov_b32 s77, -1
	s_or_b32 s73, s73, exec_lo
	s_and_saveexec_b32 s76, s75
	s_cbranch_execz .LBB4_160
	s_branch .LBB4_164
	.p2align	6
.LBB4_163:                              ;   in Loop: Header=BB4_161 Depth=3
	s_trap 2
	ds_read_b64 v[48:49], v0
	s_andn2_b32 s75, s75, exec_lo
	s_mov_b32 s74, 0
	s_waitcnt lgkmcnt(0)
	flat_load_dword v3, v[48:49] glc dlc
	s_waitcnt vmcnt(0) lgkmcnt(0)
	buffer_gl1_inv
	buffer_gl0_inv
	v_cmp_eq_u32_e32 vcc_lo, 0, v3
	s_and_b32 s76, vcc_lo, exec_lo
	s_or_b32 s75, s75, s76
	s_mov_b32 s77, -1
	s_or_b32 s73, s73, exec_lo
	s_and_saveexec_b32 s76, s75
	s_cbranch_execz .LBB4_160
.LBB4_164:                              ;   in Loop: Header=BB4_161 Depth=3
	s_sleep 1
	s_trap 2
	ds_read_b64 v[48:49], v0
	s_waitcnt lgkmcnt(0)
	buffer_gl0_inv
	s_andn2_b32 s73, s73, exec_lo
	v_cmp_ge_u64_e32 vcc_lo, v[48:49], v[12:13]
	s_orn2_b32 s77, vcc_lo, exec_lo
	s_branch .LBB4_160
.LBB4_165:                              ;   in Loop: Header=BB4_57 Depth=2
	s_inst_prefetch 0x2
	s_or_b32 exec_lo, exec_lo, s63
	s_and_saveexec_b32 s63, s72
	s_xor_b32 s63, exec_lo, s63
	s_cbranch_execz .LBB4_167
; %bb.166:                              ;   in Loop: Header=BB4_57 Depth=2
	ds_write_b32 v0, v81
	s_trap 2
.LBB4_167:                              ;   in Loop: Header=BB4_57 Depth=2
	s_or_b32 exec_lo, exec_lo, s62
	;;#ASMSTART
	s_wakeup
	;;#ASMEND
.LBB4_168:                              ;   in Loop: Header=BB4_57 Depth=2
	s_or_b32 exec_lo, exec_lo, s61
.LBB4_169:                              ;   in Loop: Header=BB4_57 Depth=2
	s_andn2_saveexec_b32 s23, s23
	s_cbranch_execz .LBB4_171
; %bb.170:                              ;   in Loop: Header=BB4_57 Depth=2
	s_waitcnt vmcnt(0) lgkmcnt(0)
	s_waitcnt_vscnt null, 0x0
	buffer_gl1_inv
	buffer_gl0_inv
	s_barrier
.LBB4_171:                              ;   in Loop: Header=BB4_57 Depth=2
	s_or_b32 exec_lo, exec_lo, s23
	s_or_b32 exec_lo, exec_lo, s17
                                        ; implicit-def: $vgpr3
	s_and_saveexec_b32 s17, s13
	s_xor_b32 s17, exec_lo, s17
	s_cbranch_execnz .LBB4_129
.LBB4_172:                              ;   in Loop: Header=BB4_57 Depth=2
	s_andn2_saveexec_b32 s16, s17
	s_cbranch_execz .LBB4_191
.LBB4_173:                              ;   in Loop: Header=BB4_57 Depth=2
	s_and_saveexec_b32 s17, s29
	s_xor_b32 s17, exec_lo, s17
	s_cbranch_execz .LBB4_188
; %bb.174:                              ;   in Loop: Header=BB4_57 Depth=2
	s_and_saveexec_b32 s23, s11
	s_cbranch_execz .LBB4_187
; %bb.175:                              ;   in Loop: Header=BB4_57 Depth=2
	s_mov_b32 s62, exec_lo
	s_mov_b32 s61, exec_lo
	v_mbcnt_lo_u32_b32 v3, s62, 0
	;;#ASMSTART
	s_waitcnt lgkmcnt(0) vmcnt(0)
	;;#ASMEND
	v_cmpx_eq_u32_e32 0, v3
	s_cbranch_execz .LBB4_177
; %bb.176:                              ;   in Loop: Header=BB4_57 Depth=2
	s_bcnt1_i32_b32 s62, s62
	v_mov_b32_e32 v49, v2
	v_mov_b32_e32 v48, s62
	s_waitcnt vmcnt(0) lgkmcnt(0)
	s_waitcnt_vscnt null, 0x0
	ds_add_u64 v0, v[48:49]
	s_trap 2
.LBB4_177:                              ;   in Loop: Header=BB4_57 Depth=2
	s_or_b32 exec_lo, exec_lo, s61
	s_trap 2
	ds_read_b64 v[48:49], v0
	s_waitcnt vmcnt(0) lgkmcnt(0)
	buffer_gl0_inv
	v_add_co_u32 v12, vcc_lo, v12, v71
	v_add_co_ci_u32_e64 v13, null, 0, v13, vcc_lo
	s_mov_b32 s61, exec_lo
	v_cmpx_lt_u64_e64 v[48:49], v[12:13]
	s_cbranch_execz .LBB4_186
; %bb.178:                              ;   in Loop: Header=BB4_57 Depth=2
	s_mov_b32 s62, 0
	s_mov_b32 s73, 0
                                        ; implicit-def: $sgpr63
                                        ; implicit-def: $sgpr72
	s_inst_prefetch 0x1
	s_branch .LBB4_180
	.p2align	6
.LBB4_179:                              ;   in Loop: Header=BB4_180 Depth=3
	s_or_b32 exec_lo, exec_lo, s75
	s_and_b32 s74, exec_lo, s76
	s_or_b32 s62, s74, s62
	s_andn2_b32 s63, s63, exec_lo
	s_and_b32 s74, s72, exec_lo
	s_or_b32 s63, s63, s74
	s_andn2_b32 exec_lo, exec_lo, s62
	s_cbranch_execz .LBB4_184
.LBB4_180:                              ;   Parent Loop BB4_47 Depth=1
                                        ;     Parent Loop BB4_57 Depth=2
                                        ; =>    This Inner Loop Header: Depth=3
	s_add_i32 s73, s73, 1
	s_cmpk_lg_i32 s73, 0x2710
	s_cselect_b32 s74, -1, 0
	s_and_b32 vcc_lo, exec_lo, s74
	s_cbranch_vccz .LBB4_182
; %bb.181:                              ;   in Loop: Header=BB4_180 Depth=3
	s_mov_b32 s76, -1
	s_or_b32 s72, s72, exec_lo
	s_and_saveexec_b32 s75, s74
	s_cbranch_execz .LBB4_179
	s_branch .LBB4_183
	.p2align	6
.LBB4_182:                              ;   in Loop: Header=BB4_180 Depth=3
	s_trap 2
	ds_read_b64 v[48:49], v0
	s_andn2_b32 s74, s74, exec_lo
	s_mov_b32 s73, 0
	s_waitcnt lgkmcnt(0)
	s_waitcnt_vscnt null, 0x0
	flat_load_dword v3, v[48:49] glc dlc
	s_waitcnt vmcnt(0) lgkmcnt(0)
	buffer_gl1_inv
	buffer_gl0_inv
	v_cmp_eq_u32_e32 vcc_lo, 0, v3
	s_and_b32 s75, vcc_lo, exec_lo
	s_or_b32 s74, s74, s75
	s_mov_b32 s76, -1
	s_or_b32 s72, s72, exec_lo
	s_and_saveexec_b32 s75, s74
	s_cbranch_execz .LBB4_179
.LBB4_183:                              ;   in Loop: Header=BB4_180 Depth=3
	s_sleep 1
	s_trap 2
	ds_read_b64 v[48:49], v0
	s_waitcnt lgkmcnt(0)
	buffer_gl0_inv
	s_andn2_b32 s72, s72, exec_lo
	v_cmp_ge_u64_e32 vcc_lo, v[48:49], v[12:13]
	s_orn2_b32 s76, vcc_lo, exec_lo
	s_branch .LBB4_179
.LBB4_184:                              ;   in Loop: Header=BB4_57 Depth=2
	s_inst_prefetch 0x2
	s_or_b32 exec_lo, exec_lo, s62
	s_and_saveexec_b32 s62, s63
	s_xor_b32 s62, exec_lo, s62
	s_cbranch_execz .LBB4_186
; %bb.185:                              ;   in Loop: Header=BB4_57 Depth=2
	ds_write_b32 v0, v81
	s_trap 2
.LBB4_186:                              ;   in Loop: Header=BB4_57 Depth=2
	s_or_b32 exec_lo, exec_lo, s61
	;;#ASMSTART
	s_wakeup
	;;#ASMEND
.LBB4_187:                              ;   in Loop: Header=BB4_57 Depth=2
	s_or_b32 exec_lo, exec_lo, s23
.LBB4_188:                              ;   in Loop: Header=BB4_57 Depth=2
	s_andn2_saveexec_b32 s17, s17
	s_cbranch_execz .LBB4_190
; %bb.189:                              ;   in Loop: Header=BB4_57 Depth=2
	;;#ASMSTART
	s_waitcnt lgkmcnt(0) vmcnt(0)
	;;#ASMEND
	s_barrier
.LBB4_190:                              ;   in Loop: Header=BB4_57 Depth=2
	s_or_b32 exec_lo, exec_lo, s17
	v_and_b32_e32 v3, 16, v69
.LBB4_191:                              ;   in Loop: Header=BB4_57 Depth=2
	s_or_b32 exec_lo, exec_lo, s16
	s_mov_b32 s16, exec_lo
	v_cmpx_ne_u32_e32 0, v3
	s_cbranch_execz .LBB4_56
; %bb.192:                              ;   in Loop: Header=BB4_57 Depth=2
	s_and_saveexec_b32 s17, s10
	s_cbranch_execz .LBB4_55
; %bb.193:                              ;   in Loop: Header=BB4_57 Depth=2
	s_waitcnt vmcnt(0) lgkmcnt(0)
	s_waitcnt_vscnt null, 0x0
	flat_store_dword v[24:25], v81
	s_branch .LBB4_55
.LBB4_194:                              ;   in Loop: Header=BB4_47 Depth=1
	s_or_b32 exec_lo, exec_lo, s19
.LBB4_195:                              ;   in Loop: Header=BB4_47 Depth=1
	s_or_b32 exec_lo, exec_lo, s18
	s_mov_b32 s17, exec_lo
	v_cmpx_gt_i32_e32 2, v3
	s_cbranch_execz .LBB4_267
; %bb.196:                              ;   in Loop: Header=BB4_47 Depth=1
	v_cmp_eq_u32_e64 s19, 0, v3
	s_mov_b32 s18, 0
	s_branch .LBB4_199
.LBB4_197:                              ;   in Loop: Header=BB4_199 Depth=2
	s_or_b32 exec_lo, exec_lo, s19
	v_add_co_u32 v36, vcc_lo, v36, 2
	v_add_co_ci_u32_e64 v37, null, 0, v37, vcc_lo
	s_waitcnt vmcnt(0) lgkmcnt(0)
	s_waitcnt_vscnt null, 0x0
	flat_store_dwordx2 v[20:21], v[36:37]
.LBB4_198:                              ;   in Loop: Header=BB4_199 Depth=2
	s_or_b32 exec_lo, exec_lo, s16
	v_add_nc_u32_e32 v65, v8, v65
	s_mov_b32 s19, 0
	s_andn2_b32 exec_lo, exec_lo, s18
	s_cbranch_execz .LBB4_266
.LBB4_199:                              ;   Parent Loop BB4_47 Depth=1
                                        ; =>  This Loop Header: Depth=2
                                        ;       Child Loop BB4_205 Depth 3
                                        ;       Child Loop BB4_229 Depth 3
	;; [unrolled: 1-line block ×3, first 2 shown]
	v_sub_nc_u32_e32 v3, v64, v65
	v_and_b32_e32 v9, 8, v69
	s_mov_b32 s21, exec_lo
	v_min_i32_e32 v8, v8, v3
	v_cmpx_ne_u32_e32 0, v9
	s_cbranch_execz .LBB4_221
; %bb.200:                              ;   in Loop: Header=BB4_199 Depth=2
	s_waitcnt vmcnt(0) lgkmcnt(1)
	v_add_co_u32 v48, vcc_lo, v26, 8
	v_add_co_ci_u32_e64 v49, null, 0, v27, vcc_lo
	v_add_co_u32 v10, vcc_lo, v36, 2
	v_add_co_ci_u32_e64 v11, null, 0, v37, vcc_lo
	s_mov_b32 s22, exec_lo
	v_cmpx_lt_u64_e64 v[48:49], v[10:11]
	s_cbranch_execz .LBB4_212
; %bb.201:                              ;   in Loop: Header=BB4_199 Depth=2
	v_and_b32_e32 v3, 64, v69
	s_mov_b32 s23, 0
	s_mov_b32 s72, 0
                                        ; implicit-def: $sgpr61
                                        ; implicit-def: $sgpr62
                                        ; implicit-def: $sgpr63
	v_cmp_eq_u32_e32 vcc_lo, 0, v3
	s_branch .LBB4_205
.LBB4_202:                              ;   in Loop: Header=BB4_205 Depth=3
	s_waitcnt vmcnt(0) lgkmcnt(0)
	v_add_co_u32 v48, s16, v26, 8
	v_add_co_ci_u32_e64 v49, null, 0, v27, s16
	s_or_b32 s75, s75, exec_lo
	v_cmp_ge_u64_e64 s16, v[48:49], v[10:11]
	s_orn2_b32 s74, s16, exec_lo
.LBB4_203:                              ;   in Loop: Header=BB4_205 Depth=3
	s_or_b32 exec_lo, exec_lo, s77
	s_andn2_b32 s16, s63, exec_lo
	s_and_b32 s63, s75, exec_lo
	s_andn2_b32 s62, s62, exec_lo
	s_and_b32 s74, s74, exec_lo
	s_or_b32 s63, s16, s63
	s_or_b32 s62, s62, s74
.LBB4_204:                              ;   in Loop: Header=BB4_205 Depth=3
	s_or_b32 exec_lo, exec_lo, s73
	s_and_b32 s16, exec_lo, s62
	s_or_b32 s23, s16, s23
	s_andn2_b32 s16, s61, exec_lo
	s_and_b32 s61, s63, exec_lo
	s_or_b32 s61, s16, s61
	s_andn2_b32 exec_lo, exec_lo, s23
	s_cbranch_execz .LBB4_209
.LBB4_205:                              ;   Parent Loop BB4_47 Depth=1
                                        ;     Parent Loop BB4_199 Depth=2
                                        ; =>    This Inner Loop Header: Depth=3
	s_sleep 1
	s_waitcnt vmcnt(0) lgkmcnt(0)
	flat_load_dwordx2 v[26:27], v[20:21] glc dlc
	s_or_b32 s63, s63, exec_lo
	s_or_b32 s62, s62, exec_lo
                                        ; implicit-def: $vgpr3
	s_and_saveexec_b32 s73, vcc_lo
	s_cbranch_execz .LBB4_204
; %bb.206:                              ;   in Loop: Header=BB4_205 Depth=3
	s_cmpk_lt_i32 s72, 0x270f
	s_mov_b32 s74, -1
	s_cselect_b32 s76, -1, 0
	s_cmpk_gt_i32 s72, 0x270e
	s_cbranch_scc0 .LBB4_208
; %bb.207:                              ;   in Loop: Header=BB4_205 Depth=3
	s_trap 2
	ds_read_b64 v[48:49], v0
	s_andn2_b32 s72, s76, exec_lo
	s_mov_b32 s75, 0
	s_waitcnt vmcnt(0) lgkmcnt(0)
	s_waitcnt_vscnt null, 0x0
	flat_load_dword v3, v[48:49] glc dlc
	s_waitcnt vmcnt(0) lgkmcnt(0)
	buffer_gl1_inv
	buffer_gl0_inv
	v_cmp_eq_u32_e64 s16, 0, v3
	s_and_b32 s16, s16, exec_lo
	s_or_b32 s76, s72, s16
	s_mov_b32 s72, 0
	s_and_saveexec_b32 s77, s76
	s_cbranch_execz .LBB4_203
	s_branch .LBB4_202
.LBB4_208:                              ;   in Loop: Header=BB4_205 Depth=3
	s_add_i32 s72, s72, 1
	s_mov_b32 s75, -1
                                        ; implicit-def: $vgpr3
	s_and_saveexec_b32 s77, s76
	s_cbranch_execz .LBB4_203
	s_branch .LBB4_202
.LBB4_209:                              ;   in Loop: Header=BB4_199 Depth=2
	s_or_b32 exec_lo, exec_lo, s23
	s_xor_b32 s16, s61, -1
	s_and_saveexec_b32 s23, s16
	s_xor_b32 s16, exec_lo, s23
	s_cbranch_execz .LBB4_211
; %bb.210:                              ;   in Loop: Header=BB4_199 Depth=2
	v_or_b32_e32 v69, 64, v69
	s_waitcnt vmcnt(0) lgkmcnt(0)
	s_waitcnt_vscnt null, 0x0
	ds_write_b32 v0, v3
	s_trap 2
.LBB4_211:                              ;   in Loop: Header=BB4_199 Depth=2
	s_or_b32 exec_lo, exec_lo, s16
.LBB4_212:                              ;   in Loop: Header=BB4_199 Depth=2
	s_or_b32 exec_lo, exec_lo, s22
	v_and_b32_e32 v3, 0x100, v69
	s_mov_b32 s16, -1
	;;#ASMSTART
	s_wakeup
	;;#ASMEND
	v_cmp_ne_u32_e32 vcc_lo, 0, v3
	v_and_b32_e32 v3, 7, v36
                                        ; implicit-def: $vgpr36_vgpr37
	s_and_saveexec_b32 s22, vcc_lo
	s_cbranch_execz .LBB4_216
; %bb.213:                              ;   in Loop: Header=BB4_199 Depth=2
	v_mad_u64_u32 v[48:49], null, v3, 24, v[6:7]
	v_ashrrev_i32_e32 v9, 31, v8
	flat_load_dword v36, v[48:49]
	flat_store_dwordx2 v[48:49], v[8:9] offset:8
	s_waitcnt vmcnt(0) lgkmcnt(1)
	v_cmp_eq_u32_e64 s16, 1, v36
	v_cmp_ne_u32_e32 vcc_lo, 1, v36
                                        ; implicit-def: $vgpr36_vgpr37
	s_and_saveexec_b32 s23, s16
	s_cbranch_execz .LBB4_215
; %bb.214:                              ;   in Loop: Header=BB4_199 Depth=2
	flat_load_dword v36, v[48:49] offset:4 glc dlc
	s_waitcnt vmcnt(0) lgkmcnt(0)
	v_ashrrev_i32_e32 v37, 31, v36
.LBB4_215:                              ;   in Loop: Header=BB4_199 Depth=2
	s_or_b32 exec_lo, exec_lo, s23
	s_orn2_b32 s16, vcc_lo, exec_lo
.LBB4_216:                              ;   in Loop: Header=BB4_199 Depth=2
	s_or_b32 exec_lo, exec_lo, s22
	s_and_saveexec_b32 s22, s16
; %bb.217:                              ;   in Loop: Header=BB4_199 Depth=2
	v_mad_i64_i32 v[36:37], null, v3, v70, 0
; %bb.218:                              ;   in Loop: Header=BB4_199 Depth=2
	s_or_b32 exec_lo, exec_lo, s22
	v_add_co_u32 v36, vcc_lo, v22, v36
	v_and_b32_e32 v3, 0x2000, v69
	v_add_co_ci_u32_e64 v37, null, v23, v37, vcc_lo
	s_mov_b32 s16, exec_lo
	ds_write_b64 v0, v[36:37] offset:784
	v_cmpx_ne_u32_e32 0, v3
	s_cbranch_execz .LBB4_220
; %bb.219:                              ;   in Loop: Header=BB4_199 Depth=2
	ds_read_b64 v[36:37], v0 offset:872
	s_waitcnt lgkmcnt(0)
	v_add_co_u32 v36, vcc_lo, v36, 1
	v_add_co_ci_u32_e64 v37, null, 0, v37, vcc_lo
	ds_write_b64 v0, v[36:37] offset:872
.LBB4_220:                              ;   in Loop: Header=BB4_199 Depth=2
	s_or_b32 exec_lo, exec_lo, s16
	v_mov_b32_e32 v37, v11
	v_mov_b32_e32 v36, v10
.LBB4_221:                              ;   in Loop: Header=BB4_199 Depth=2
	s_or_b32 exec_lo, exec_lo, s21
	s_xor_b32 s16, s19, -1
	s_and_b32 s16, exec_lo, s16
	s_or_b32 s18, s16, s18
	s_and_saveexec_b32 s16, s6
	s_cbranch_execz .LBB4_240
; %bb.222:                              ;   in Loop: Header=BB4_199 Depth=2
	s_and_saveexec_b32 s19, s29
	s_xor_b32 s19, exec_lo, s19
	s_cbranch_execz .LBB4_237
; %bb.223:                              ;   in Loop: Header=BB4_199 Depth=2
	s_and_saveexec_b32 s21, s11
	s_cbranch_execz .LBB4_236
; %bb.224:                              ;   in Loop: Header=BB4_199 Depth=2
	s_mov_b32 s23, exec_lo
	s_mov_b32 s22, exec_lo
	v_mbcnt_lo_u32_b32 v3, s23, 0
	s_waitcnt vmcnt(0) lgkmcnt(0)
	s_waitcnt_vscnt null, 0x0
	buffer_gl1_inv
	buffer_gl0_inv
	v_cmpx_eq_u32_e32 0, v3
	s_cbranch_execz .LBB4_226
; %bb.225:                              ;   in Loop: Header=BB4_199 Depth=2
	s_bcnt1_i32_b32 s23, s23
	v_mov_b32_e32 v10, v2
	v_mov_b32_e32 v9, s23
	ds_add_u64 v0, v[9:10]
	s_trap 2
.LBB4_226:                              ;   in Loop: Header=BB4_199 Depth=2
	s_or_b32 exec_lo, exec_lo, s22
	s_trap 2
	ds_read_b64 v[9:10], v0
	s_waitcnt lgkmcnt(0)
	buffer_gl0_inv
	v_add_co_u32 v12, vcc_lo, v12, v71
	v_add_co_ci_u32_e64 v13, null, 0, v13, vcc_lo
	s_mov_b32 s22, exec_lo
	v_cmpx_lt_u64_e64 v[9:10], v[12:13]
	s_cbranch_execz .LBB4_235
; %bb.227:                              ;   in Loop: Header=BB4_199 Depth=2
	s_mov_b32 s23, 0
	s_mov_b32 s63, 0
                                        ; implicit-def: $sgpr61
                                        ; implicit-def: $sgpr62
	s_inst_prefetch 0x1
	s_branch .LBB4_229
	.p2align	6
.LBB4_228:                              ;   in Loop: Header=BB4_229 Depth=3
	s_or_b32 exec_lo, exec_lo, s73
	s_and_b32 s72, exec_lo, s74
	s_or_b32 s23, s72, s23
	s_andn2_b32 s61, s61, exec_lo
	s_and_b32 s72, s62, exec_lo
	s_or_b32 s61, s61, s72
	s_andn2_b32 exec_lo, exec_lo, s23
	s_cbranch_execz .LBB4_233
.LBB4_229:                              ;   Parent Loop BB4_47 Depth=1
                                        ;     Parent Loop BB4_199 Depth=2
                                        ; =>    This Inner Loop Header: Depth=3
	s_add_i32 s63, s63, 1
	s_cmpk_lg_i32 s63, 0x2710
	s_cselect_b32 s72, -1, 0
	s_and_b32 vcc_lo, exec_lo, s72
	s_cbranch_vccz .LBB4_231
; %bb.230:                              ;   in Loop: Header=BB4_229 Depth=3
	s_mov_b32 s74, -1
	s_or_b32 s62, s62, exec_lo
	s_and_saveexec_b32 s73, s72
	s_cbranch_execz .LBB4_228
	s_branch .LBB4_232
	.p2align	6
.LBB4_231:                              ;   in Loop: Header=BB4_229 Depth=3
	s_trap 2
	ds_read_b64 v[9:10], v0
	s_andn2_b32 s72, s72, exec_lo
	s_mov_b32 s63, 0
	s_waitcnt lgkmcnt(0)
	flat_load_dword v3, v[9:10] glc dlc
	s_waitcnt vmcnt(0) lgkmcnt(0)
	buffer_gl1_inv
	buffer_gl0_inv
	v_cmp_eq_u32_e32 vcc_lo, 0, v3
	s_and_b32 s73, vcc_lo, exec_lo
	s_or_b32 s72, s72, s73
	s_mov_b32 s74, -1
	s_or_b32 s62, s62, exec_lo
	s_and_saveexec_b32 s73, s72
	s_cbranch_execz .LBB4_228
.LBB4_232:                              ;   in Loop: Header=BB4_229 Depth=3
	s_sleep 1
	s_trap 2
	ds_read_b64 v[9:10], v0
	s_waitcnt lgkmcnt(0)
	buffer_gl0_inv
	s_andn2_b32 s62, s62, exec_lo
	v_cmp_ge_u64_e32 vcc_lo, v[9:10], v[12:13]
	s_orn2_b32 s74, vcc_lo, exec_lo
	s_branch .LBB4_228
.LBB4_233:                              ;   in Loop: Header=BB4_199 Depth=2
	s_inst_prefetch 0x2
	s_or_b32 exec_lo, exec_lo, s23
	s_and_saveexec_b32 s23, s61
	s_xor_b32 s23, exec_lo, s23
	s_cbranch_execz .LBB4_235
; %bb.234:                              ;   in Loop: Header=BB4_199 Depth=2
	ds_write_b32 v0, v81
	s_trap 2
.LBB4_235:                              ;   in Loop: Header=BB4_199 Depth=2
	s_or_b32 exec_lo, exec_lo, s22
	;;#ASMSTART
	s_wakeup
	;;#ASMEND
.LBB4_236:                              ;   in Loop: Header=BB4_199 Depth=2
	s_or_b32 exec_lo, exec_lo, s21
.LBB4_237:                              ;   in Loop: Header=BB4_199 Depth=2
	s_andn2_saveexec_b32 s19, s19
	s_cbranch_execz .LBB4_239
; %bb.238:                              ;   in Loop: Header=BB4_199 Depth=2
	s_waitcnt vmcnt(0) lgkmcnt(0)
	s_waitcnt_vscnt null, 0x0
	buffer_gl1_inv
	buffer_gl0_inv
	s_barrier
.LBB4_239:                              ;   in Loop: Header=BB4_199 Depth=2
	s_or_b32 exec_lo, exec_lo, s19
.LBB4_240:                              ;   in Loop: Header=BB4_199 Depth=2
	s_or_b32 exec_lo, exec_lo, s16
                                        ; implicit-def: $vgpr3
	s_and_saveexec_b32 s16, s13
	s_xor_b32 s19, exec_lo, s16
	s_cbranch_execz .LBB4_244
; %bb.241:                              ;   in Loop: Header=BB4_199 Depth=2
	s_trap 2
	ds_read_b32 v3, v0
	v_cmp_lt_i32_e32 vcc_lo, 0, v8
	s_waitcnt lgkmcnt(0)
	v_readfirstlane_b32 s16, v3
	v_and_b32_e32 v3, 16, v69
	s_cmp_eq_u32 s16, 0
	v_cmp_ne_u32_e64 s16, 0, v3
	s_cselect_b32 s21, -1, 0
	v_and_b32_e32 v3, 16, v69
	s_and_b32 s21, vcc_lo, s21
	s_and_b32 s21, s16, s21
	s_and_saveexec_b32 s16, s21
	s_cbranch_execz .LBB4_243
; %bb.242:                              ;   in Loop: Header=BB4_199 Depth=2
	v_mov_b32_e32 v3, 1
	s_waitcnt vmcnt(0)
	s_waitcnt_vscnt null, 0x0
	buffer_gl1_inv
	buffer_gl0_inv
.LBB4_243:                              ;   in Loop: Header=BB4_199 Depth=2
	s_or_b32 exec_lo, exec_lo, s16
	s_andn2_saveexec_b32 s16, s19
	s_cbranch_execz .LBB4_263
	s_branch .LBB4_245
.LBB4_244:                              ;   in Loop: Header=BB4_199 Depth=2
	s_andn2_saveexec_b32 s16, s19
	s_cbranch_execz .LBB4_263
.LBB4_245:                              ;   in Loop: Header=BB4_199 Depth=2
	s_and_saveexec_b32 s19, s29
	s_xor_b32 s19, exec_lo, s19
	s_cbranch_execz .LBB4_260
; %bb.246:                              ;   in Loop: Header=BB4_199 Depth=2
	s_and_saveexec_b32 s21, s11
	s_cbranch_execz .LBB4_259
; %bb.247:                              ;   in Loop: Header=BB4_199 Depth=2
	s_mov_b32 s23, exec_lo
	s_mov_b32 s22, exec_lo
	v_mbcnt_lo_u32_b32 v3, s23, 0
	;;#ASMSTART
	s_waitcnt lgkmcnt(0) vmcnt(0)
	;;#ASMEND
	v_cmpx_eq_u32_e32 0, v3
	s_cbranch_execz .LBB4_249
; %bb.248:                              ;   in Loop: Header=BB4_199 Depth=2
	s_bcnt1_i32_b32 s23, s23
	v_mov_b32_e32 v10, v2
	v_mov_b32_e32 v9, s23
	s_waitcnt vmcnt(0) lgkmcnt(0)
	s_waitcnt_vscnt null, 0x0
	ds_add_u64 v0, v[9:10]
	s_trap 2
.LBB4_249:                              ;   in Loop: Header=BB4_199 Depth=2
	s_or_b32 exec_lo, exec_lo, s22
	s_trap 2
	ds_read_b64 v[9:10], v0
	s_waitcnt vmcnt(0) lgkmcnt(0)
	buffer_gl0_inv
	v_add_co_u32 v12, vcc_lo, v12, v71
	v_add_co_ci_u32_e64 v13, null, 0, v13, vcc_lo
	s_mov_b32 s22, exec_lo
	v_cmpx_lt_u64_e64 v[9:10], v[12:13]
	s_cbranch_execz .LBB4_258
; %bb.250:                              ;   in Loop: Header=BB4_199 Depth=2
	s_mov_b32 s23, 0
	s_mov_b32 s63, 0
                                        ; implicit-def: $sgpr61
                                        ; implicit-def: $sgpr62
	s_inst_prefetch 0x1
	s_branch .LBB4_252
	.p2align	6
.LBB4_251:                              ;   in Loop: Header=BB4_252 Depth=3
	s_or_b32 exec_lo, exec_lo, s73
	s_and_b32 s72, exec_lo, s74
	s_or_b32 s23, s72, s23
	s_andn2_b32 s61, s61, exec_lo
	s_and_b32 s72, s62, exec_lo
	s_or_b32 s61, s61, s72
	s_andn2_b32 exec_lo, exec_lo, s23
	s_cbranch_execz .LBB4_256
.LBB4_252:                              ;   Parent Loop BB4_47 Depth=1
                                        ;     Parent Loop BB4_199 Depth=2
                                        ; =>    This Inner Loop Header: Depth=3
	s_add_i32 s63, s63, 1
	s_cmpk_lg_i32 s63, 0x2710
	s_cselect_b32 s72, -1, 0
	s_and_b32 vcc_lo, exec_lo, s72
	s_cbranch_vccz .LBB4_254
; %bb.253:                              ;   in Loop: Header=BB4_252 Depth=3
	s_mov_b32 s74, -1
	s_or_b32 s62, s62, exec_lo
	s_and_saveexec_b32 s73, s72
	s_cbranch_execz .LBB4_251
	s_branch .LBB4_255
	.p2align	6
.LBB4_254:                              ;   in Loop: Header=BB4_252 Depth=3
	s_trap 2
	ds_read_b64 v[9:10], v0
	s_andn2_b32 s72, s72, exec_lo
	s_mov_b32 s63, 0
	s_waitcnt lgkmcnt(0)
	s_waitcnt_vscnt null, 0x0
	flat_load_dword v3, v[9:10] glc dlc
	s_waitcnt vmcnt(0) lgkmcnt(0)
	buffer_gl1_inv
	buffer_gl0_inv
	v_cmp_eq_u32_e32 vcc_lo, 0, v3
	s_and_b32 s73, vcc_lo, exec_lo
	s_or_b32 s72, s72, s73
	s_mov_b32 s74, -1
	s_or_b32 s62, s62, exec_lo
	s_and_saveexec_b32 s73, s72
	s_cbranch_execz .LBB4_251
.LBB4_255:                              ;   in Loop: Header=BB4_252 Depth=3
	s_sleep 1
	s_trap 2
	ds_read_b64 v[9:10], v0
	s_waitcnt lgkmcnt(0)
	buffer_gl0_inv
	s_andn2_b32 s62, s62, exec_lo
	v_cmp_ge_u64_e32 vcc_lo, v[9:10], v[12:13]
	s_orn2_b32 s74, vcc_lo, exec_lo
	s_branch .LBB4_251
.LBB4_256:                              ;   in Loop: Header=BB4_199 Depth=2
	s_inst_prefetch 0x2
	s_or_b32 exec_lo, exec_lo, s23
	s_and_saveexec_b32 s23, s61
	s_xor_b32 s23, exec_lo, s23
	s_cbranch_execz .LBB4_258
; %bb.257:                              ;   in Loop: Header=BB4_199 Depth=2
	ds_write_b32 v0, v81
	s_trap 2
.LBB4_258:                              ;   in Loop: Header=BB4_199 Depth=2
	s_or_b32 exec_lo, exec_lo, s22
	;;#ASMSTART
	s_wakeup
	;;#ASMEND
.LBB4_259:                              ;   in Loop: Header=BB4_199 Depth=2
	s_or_b32 exec_lo, exec_lo, s21
.LBB4_260:                              ;   in Loop: Header=BB4_199 Depth=2
	s_andn2_saveexec_b32 s19, s19
	s_cbranch_execz .LBB4_262
; %bb.261:                              ;   in Loop: Header=BB4_199 Depth=2
	;;#ASMSTART
	s_waitcnt lgkmcnt(0) vmcnt(0)
	;;#ASMEND
	s_barrier
.LBB4_262:                              ;   in Loop: Header=BB4_199 Depth=2
	s_or_b32 exec_lo, exec_lo, s19
	v_and_b32_e32 v3, 16, v69
.LBB4_263:                              ;   in Loop: Header=BB4_199 Depth=2
	s_or_b32 exec_lo, exec_lo, s16
	s_mov_b32 s16, exec_lo
	v_cmpx_ne_u32_e32 0, v3
	s_cbranch_execz .LBB4_198
; %bb.264:                              ;   in Loop: Header=BB4_199 Depth=2
	s_and_saveexec_b32 s19, s10
	s_cbranch_execz .LBB4_197
; %bb.265:                              ;   in Loop: Header=BB4_199 Depth=2
	s_waitcnt vmcnt(0) lgkmcnt(0)
	s_waitcnt_vscnt null, 0x0
	flat_store_dword v[24:25], v81
	s_branch .LBB4_197
.LBB4_266:                              ;   in Loop: Header=BB4_47 Depth=1
	s_or_b32 exec_lo, exec_lo, s18
.LBB4_267:                              ;   in Loop: Header=BB4_47 Depth=1
	s_or_b32 exec_lo, exec_lo, s17
	s_andn2_b32 vcc_lo, exec_lo, s46
	s_cbranch_vccnz .LBB4_492
; %bb.268:                              ;   in Loop: Header=BB4_47 Depth=1
	s_mov_b32 s18, 2
	s_branch .LBB4_271
.LBB4_269:                              ;   in Loop: Header=BB4_271 Depth=2
	s_or_b32 exec_lo, exec_lo, s19
.LBB4_270:                              ;   in Loop: Header=BB4_271 Depth=2
	s_or_b32 exec_lo, exec_lo, s17
	s_add_i32 s18, s18, 1
	s_cmp_eq_u32 s18, s25
	s_cbranch_scc1 .LBB4_492
.LBB4_271:                              ;   Parent Loop BB4_47 Depth=1
                                        ; =>  This Loop Header: Depth=2
                                        ;       Child Loop BB4_274 Depth 3
                                        ;         Child Loop BB4_282 Depth 4
                                        ;         Child Loop BB4_310 Depth 4
	;; [unrolled: 1-line block ×9, first 2 shown]
                                        ;       Child Loop BB4_420 Depth 3
                                        ;         Child Loop BB4_426 Depth 4
                                        ;         Child Loop BB4_454 Depth 4
	;; [unrolled: 1-line block ×3, first 2 shown]
	s_sub_i32 s16, s42, s18
	v_mov_b32_e32 v67, 0
	s_cmp_ge_i32 s16, s25
	s_mov_b32 s21, 0
	s_cselect_b32 s17, s25, 0
	s_sub_i32 s16, s16, s17
	s_ashr_i32 s17, s16, 31
	v_mul_lo_u32 v3, v35, s16
	v_mad_u64_u32 v[10:11], null, v34, s16, 0
	v_mul_lo_u32 v8, v34, s17
	v_add3_u32 v11, v11, v8, v3
	v_sub_co_u32 v8, vcc_lo, v38, v10
	v_sub_co_ci_u32_e64 v9, null, v39, v11, vcc_lo
	v_cmp_lt_i64_e32 vcc_lo, v[34:35], v[8:9]
	v_cndmask_b32_e32 v8, v8, v34, vcc_lo
	v_max_i32_e32 v66, 0, v8
	v_cmp_lt_i32_e32 vcc_lo, 0, v8
	v_add_nc_u32_e32 v3, 31, v66
	s_and_b32 s16, s57, vcc_lo
	v_lshrrev_b32_e32 v3, 1, v3
	v_and_b32_e32 v9, 0x3ffffff0, v3
	v_mov_b32_e32 v3, 0
	v_max_i32_e32 v8, s45, v9
	s_and_saveexec_b32 s19, s16
	s_cbranch_execz .LBB4_417
; %bb.272:                              ;   in Loop: Header=BB4_271 Depth=2
	v_mov_b32_e32 v67, 0
	s_mov_b32 s23, 1
	s_mov_b32 s22, -1
	s_branch .LBB4_274
.LBB4_273:                              ;   in Loop: Header=BB4_274 Depth=3
	s_or_b32 exec_lo, exec_lo, s16
	v_add_nc_u32_e32 v67, v8, v67
	s_xor_b32 s16, s22, -1
	v_mov_b32_e32 v3, s23
	s_mov_b32 s22, 0
	s_mov_b32 s23, 2
	v_cmp_ge_i32_e32 vcc_lo, v67, v66
	s_or_b32 s16, s16, vcc_lo
	s_and_b32 s16, exec_lo, s16
	s_or_b32 s21, s16, s21
	s_andn2_b32 exec_lo, exec_lo, s21
	s_cbranch_execz .LBB4_416
.LBB4_274:                              ;   Parent Loop BB4_47 Depth=1
                                        ;     Parent Loop BB4_271 Depth=2
                                        ; =>    This Loop Header: Depth=3
                                        ;         Child Loop BB4_282 Depth 4
                                        ;         Child Loop BB4_310 Depth 4
	;; [unrolled: 1-line block ×9, first 2 shown]
	s_and_saveexec_b32 s16, s4
	s_cbranch_execz .LBB4_276
; %bb.275:                              ;   in Loop: Header=BB4_274 Depth=3
	s_trap 2
	ds_read_b64 v[48:49], v0
	s_waitcnt lgkmcnt(0)
	v_add_co_u32 v3, vcc_lo, v48, v118
	v_add_co_ci_u32_e64 v9, null, v49, v119, vcc_lo
	v_ashrrev_i32_e32 v49, 31, v67
	v_add_co_u32 v3, vcc_lo, v3, v10
	v_add_co_ci_u32_e64 v9, null, v9, v11, vcc_lo
	v_add_co_u32 v48, vcc_lo, v3, v67
	v_add_co_ci_u32_e64 v49, null, v9, v49, vcc_lo
	v_mov_b32_e32 v3, v2
	ds_write_b64 v0, v[48:49]
	ds_write_b64 v0, v[2:3]
.LBB4_276:                              ;   in Loop: Header=BB4_274 Depth=3
	s_or_b32 exec_lo, exec_lo, s16
	v_sub_nc_u32_e32 v3, v66, v67
	v_and_b32_e32 v9, 12, v69
	s_mov_b32 s17, exec_lo
	v_min_i32_e32 v8, v8, v3
	v_cmpx_ne_u32_e32 0, v9
	s_cbranch_execz .LBB4_302
; %bb.277:                              ;   in Loop: Header=BB4_274 Depth=3
	v_and_b32_e32 v3, 8, v69
	s_mov_b32 s61, exec_lo
	s_waitcnt vmcnt(0) lgkmcnt(1)
	v_add_co_u32 v50, vcc_lo, v26, v3
	v_add_co_ci_u32_e64 v51, null, 0, v27, vcc_lo
	v_add_co_u32 v48, vcc_lo, v36, 2
	v_add_co_ci_u32_e64 v49, null, 0, v37, vcc_lo
	v_cmpx_lt_u64_e64 v[50:51], v[48:49]
	s_cbranch_execz .LBB4_289
; %bb.278:                              ;   in Loop: Header=BB4_274 Depth=3
	v_and_b32_e32 v9, 64, v69
	s_mov_b32 s62, 0
	s_mov_b32 s74, 0
                                        ; implicit-def: $sgpr63
                                        ; implicit-def: $sgpr72
                                        ; implicit-def: $sgpr73
	v_cmp_eq_u32_e32 vcc_lo, 0, v9
	s_branch .LBB4_282
.LBB4_279:                              ;   in Loop: Header=BB4_282 Depth=4
	s_waitcnt vmcnt(0) lgkmcnt(0)
	v_add_co_u32 v50, s16, v26, v3
	v_add_co_ci_u32_e64 v51, null, 0, v27, s16
	s_or_b32 s77, s77, exec_lo
	v_cmp_ge_u64_e64 s16, v[50:51], v[48:49]
	s_orn2_b32 s76, s16, exec_lo
.LBB4_280:                              ;   in Loop: Header=BB4_282 Depth=4
	s_or_b32 exec_lo, exec_lo, s79
	s_andn2_b32 s16, s73, exec_lo
	s_and_b32 s73, s77, exec_lo
	s_andn2_b32 s72, s72, exec_lo
	s_and_b32 s76, s76, exec_lo
	s_or_b32 s73, s16, s73
	s_or_b32 s72, s72, s76
.LBB4_281:                              ;   in Loop: Header=BB4_282 Depth=4
	s_or_b32 exec_lo, exec_lo, s75
	s_and_b32 s16, exec_lo, s72
	s_or_b32 s62, s16, s62
	s_andn2_b32 s16, s63, exec_lo
	s_and_b32 s63, s73, exec_lo
	s_or_b32 s63, s16, s63
	s_andn2_b32 exec_lo, exec_lo, s62
	s_cbranch_execz .LBB4_286
.LBB4_282:                              ;   Parent Loop BB4_47 Depth=1
                                        ;     Parent Loop BB4_271 Depth=2
                                        ;       Parent Loop BB4_274 Depth=3
                                        ; =>      This Inner Loop Header: Depth=4
	s_sleep 1
	s_waitcnt vmcnt(0) lgkmcnt(0)
	flat_load_dwordx2 v[26:27], v[20:21] glc dlc
	s_or_b32 s73, s73, exec_lo
	s_or_b32 s72, s72, exec_lo
                                        ; implicit-def: $vgpr9
	s_and_saveexec_b32 s75, vcc_lo
	s_cbranch_execz .LBB4_281
; %bb.283:                              ;   in Loop: Header=BB4_282 Depth=4
	s_cmpk_lt_i32 s74, 0x270f
	s_mov_b32 s76, -1
	s_cselect_b32 s78, -1, 0
	s_cmpk_gt_i32 s74, 0x270e
	s_cbranch_scc0 .LBB4_285
; %bb.284:                              ;   in Loop: Header=BB4_282 Depth=4
	s_trap 2
	ds_read_b64 v[50:51], v0
	s_andn2_b32 s74, s78, exec_lo
	s_mov_b32 s77, 0
	s_waitcnt vmcnt(0) lgkmcnt(0)
	s_waitcnt_vscnt null, 0x0
	flat_load_dword v9, v[50:51] glc dlc
	s_waitcnt vmcnt(0) lgkmcnt(0)
	buffer_gl1_inv
	buffer_gl0_inv
	v_cmp_eq_u32_e64 s16, 0, v9
	s_and_b32 s16, s16, exec_lo
	s_or_b32 s78, s74, s16
	s_mov_b32 s74, 0
	s_and_saveexec_b32 s79, s78
	s_cbranch_execz .LBB4_280
	s_branch .LBB4_279
.LBB4_285:                              ;   in Loop: Header=BB4_282 Depth=4
	s_add_i32 s74, s74, 1
	s_mov_b32 s77, -1
                                        ; implicit-def: $vgpr9
	s_and_saveexec_b32 s79, s78
	s_cbranch_execz .LBB4_280
	s_branch .LBB4_279
.LBB4_286:                              ;   in Loop: Header=BB4_274 Depth=3
	s_or_b32 exec_lo, exec_lo, s62
	s_xor_b32 s16, s63, -1
	s_and_saveexec_b32 s62, s16
	s_xor_b32 s16, exec_lo, s62
	s_cbranch_execz .LBB4_288
; %bb.287:                              ;   in Loop: Header=BB4_274 Depth=3
	v_or_b32_e32 v69, 64, v69
	s_waitcnt vmcnt(0) lgkmcnt(0)
	s_waitcnt_vscnt null, 0x0
	ds_write_b32 v0, v9
	s_trap 2
.LBB4_288:                              ;   in Loop: Header=BB4_274 Depth=3
	s_or_b32 exec_lo, exec_lo, s16
.LBB4_289:                              ;   in Loop: Header=BB4_274 Depth=3
	s_or_b32 exec_lo, exec_lo, s61
	v_and_b32_e32 v9, 0x108, v69
	s_mov_b32 s16, exec_lo
	;;#ASMSTART
	s_wakeup
	;;#ASMEND
                                        ; implicit-def: $vgpr50_vgpr51
	v_cmpx_ne_u32_e32 0x108, v9
	s_xor_b32 s16, exec_lo, s16
; %bb.290:                              ;   in Loop: Header=BB4_274 Depth=3
	v_and_b32_e32 v50, 7, v36
	v_mov_b32_e32 v51, v2
                                        ; implicit-def: $vgpr36_vgpr37
; %bb.291:                              ;   in Loop: Header=BB4_274 Depth=3
	s_andn2_saveexec_b32 s16, s16
	s_cbranch_execz .LBB4_293
; %bb.292:                              ;   in Loop: Header=BB4_274 Depth=3
	v_and_b32_e32 v50, 7, v36
	v_ashrrev_i32_e32 v9, 31, v8
	v_mov_b32_e32 v51, v2
	v_mad_u64_u32 v[36:37], null, v50, 24, v[6:7]
	flat_store_dwordx2 v[36:37], v[8:9] offset:8
.LBB4_293:                              ;   in Loop: Header=BB4_274 Depth=3
	s_or_b32 exec_lo, exec_lo, s16
	v_and_b32_e32 v9, 0x100, v69
	s_mov_b32 s16, -1
	s_mov_b32 s61, exec_lo
                                        ; implicit-def: $vgpr36_vgpr37
	v_cmpx_ne_u32_e32 0, v9
	s_cbranch_execz .LBB4_297
; %bb.294:                              ;   in Loop: Header=BB4_274 Depth=3
	v_mad_u64_u32 v[52:53], null, v50, 24, v[6:7]
	s_mov_b32 s62, exec_lo
	v_mov_b32_e32 v9, v53
	v_mad_u64_u32 v[36:37], null, v51, 24, v[9:10]
	v_mov_b32_e32 v53, v36
                                        ; implicit-def: $vgpr36_vgpr37
	flat_load_dword v9, v[52:53]
	s_waitcnt vmcnt(0) lgkmcnt(0)
	v_cmp_ne_u32_e32 vcc_lo, 1, v9
	v_cmpx_eq_u32_e32 1, v9
	s_cbranch_execz .LBB4_296
; %bb.295:                              ;   in Loop: Header=BB4_274 Depth=3
	flat_load_dword v36, v[52:53] offset:4 glc dlc
	s_waitcnt vmcnt(0) lgkmcnt(0)
	v_ashrrev_i32_e32 v37, 31, v36
.LBB4_296:                              ;   in Loop: Header=BB4_274 Depth=3
	s_or_b32 exec_lo, exec_lo, s62
	s_orn2_b32 s16, vcc_lo, exec_lo
.LBB4_297:                              ;   in Loop: Header=BB4_274 Depth=3
	s_or_b32 exec_lo, exec_lo, s61
	s_and_saveexec_b32 s61, s16
; %bb.298:                              ;   in Loop: Header=BB4_274 Depth=3
	v_mul_lo_u32 v9, v51, v70
	v_mul_lo_u32 v51, v50, v30
	v_mad_u64_u32 v[36:37], null, v50, v70, 0
	v_add3_u32 v37, v37, v51, v9
; %bb.299:                              ;   in Loop: Header=BB4_274 Depth=3
	s_or_b32 exec_lo, exec_lo, s61
	v_cmp_eq_u32_e32 vcc_lo, 0, v3
	v_and_b32_e32 v9, 0x2000, v69
	s_mov_b32 s16, exec_lo
	v_cndmask_b32_e32 v3, 0xc8, v82, vcc_lo
	v_add_co_u32 v36, vcc_lo, v22, v36
	v_add_co_ci_u32_e64 v37, null, v23, v37, vcc_lo
	v_add_nc_u32_e32 v3, v0, v3
	ds_write_b64 v3, v[36:37] offset:584
	v_cmpx_ne_u32_e32 0, v9
	s_cbranch_execz .LBB4_301
; %bb.300:                              ;   in Loop: Header=BB4_274 Depth=3
	ds_read_b64 v[36:37], v0 offset:872
	s_waitcnt lgkmcnt(0)
	v_add_co_u32 v36, vcc_lo, v36, 1
	v_add_co_ci_u32_e64 v37, null, 0, v37, vcc_lo
	ds_write_b64 v0, v[36:37] offset:872
.LBB4_301:                              ;   in Loop: Header=BB4_274 Depth=3
	s_or_b32 exec_lo, exec_lo, s16
	v_mov_b32_e32 v36, v48
	v_mov_b32_e32 v37, v49
.LBB4_302:                              ;   in Loop: Header=BB4_274 Depth=3
	s_or_b32 exec_lo, exec_lo, s17
	s_and_saveexec_b32 s16, s6
	s_cbranch_execz .LBB4_321
; %bb.303:                              ;   in Loop: Header=BB4_274 Depth=3
	s_and_saveexec_b32 s17, s29
	s_xor_b32 s17, exec_lo, s17
	s_cbranch_execz .LBB4_318
; %bb.304:                              ;   in Loop: Header=BB4_274 Depth=3
	s_and_saveexec_b32 s61, s11
	s_cbranch_execz .LBB4_317
; %bb.305:                              ;   in Loop: Header=BB4_274 Depth=3
	s_mov_b32 s63, exec_lo
	s_mov_b32 s62, exec_lo
	v_mbcnt_lo_u32_b32 v3, s63, 0
	s_waitcnt vmcnt(0) lgkmcnt(0)
	s_waitcnt_vscnt null, 0x0
	buffer_gl1_inv
	buffer_gl0_inv
	v_cmpx_eq_u32_e32 0, v3
	s_cbranch_execz .LBB4_307
; %bb.306:                              ;   in Loop: Header=BB4_274 Depth=3
	s_bcnt1_i32_b32 s63, s63
	v_mov_b32_e32 v49, v2
	v_mov_b32_e32 v48, s63
	ds_add_u64 v0, v[48:49]
	s_trap 2
.LBB4_307:                              ;   in Loop: Header=BB4_274 Depth=3
	s_or_b32 exec_lo, exec_lo, s62
	s_trap 2
	ds_read_b64 v[48:49], v0
	s_waitcnt lgkmcnt(0)
	buffer_gl0_inv
	v_add_co_u32 v12, vcc_lo, v12, v71
	v_add_co_ci_u32_e64 v13, null, 0, v13, vcc_lo
	s_mov_b32 s62, exec_lo
	v_cmpx_lt_u64_e64 v[48:49], v[12:13]
	s_cbranch_execz .LBB4_316
; %bb.308:                              ;   in Loop: Header=BB4_274 Depth=3
	s_mov_b32 s63, 0
	s_mov_b32 s74, 0
                                        ; implicit-def: $sgpr72
                                        ; implicit-def: $sgpr73
	s_inst_prefetch 0x1
	s_branch .LBB4_310
	.p2align	6
.LBB4_309:                              ;   in Loop: Header=BB4_310 Depth=4
	s_or_b32 exec_lo, exec_lo, s76
	s_and_b32 s75, exec_lo, s77
	s_or_b32 s63, s75, s63
	s_andn2_b32 s72, s72, exec_lo
	s_and_b32 s75, s73, exec_lo
	s_or_b32 s72, s72, s75
	s_andn2_b32 exec_lo, exec_lo, s63
	s_cbranch_execz .LBB4_314
.LBB4_310:                              ;   Parent Loop BB4_47 Depth=1
                                        ;     Parent Loop BB4_271 Depth=2
                                        ;       Parent Loop BB4_274 Depth=3
                                        ; =>      This Inner Loop Header: Depth=4
	s_add_i32 s74, s74, 1
	s_cmpk_lg_i32 s74, 0x2710
	s_cselect_b32 s75, -1, 0
	s_and_b32 vcc_lo, exec_lo, s75
	s_cbranch_vccz .LBB4_312
; %bb.311:                              ;   in Loop: Header=BB4_310 Depth=4
	s_mov_b32 s77, -1
	s_or_b32 s73, s73, exec_lo
	s_and_saveexec_b32 s76, s75
	s_cbranch_execz .LBB4_309
	s_branch .LBB4_313
	.p2align	6
.LBB4_312:                              ;   in Loop: Header=BB4_310 Depth=4
	s_trap 2
	ds_read_b64 v[48:49], v0
	s_andn2_b32 s75, s75, exec_lo
	s_mov_b32 s74, 0
	s_waitcnt lgkmcnt(0)
	flat_load_dword v3, v[48:49] glc dlc
	s_waitcnt vmcnt(0) lgkmcnt(0)
	buffer_gl1_inv
	buffer_gl0_inv
	v_cmp_eq_u32_e32 vcc_lo, 0, v3
	s_and_b32 s76, vcc_lo, exec_lo
	s_or_b32 s75, s75, s76
	s_mov_b32 s77, -1
	s_or_b32 s73, s73, exec_lo
	s_and_saveexec_b32 s76, s75
	s_cbranch_execz .LBB4_309
.LBB4_313:                              ;   in Loop: Header=BB4_310 Depth=4
	s_sleep 1
	s_trap 2
	ds_read_b64 v[48:49], v0
	s_waitcnt lgkmcnt(0)
	buffer_gl0_inv
	s_andn2_b32 s73, s73, exec_lo
	v_cmp_ge_u64_e32 vcc_lo, v[48:49], v[12:13]
	s_orn2_b32 s77, vcc_lo, exec_lo
	s_branch .LBB4_309
.LBB4_314:                              ;   in Loop: Header=BB4_274 Depth=3
	s_inst_prefetch 0x2
	s_or_b32 exec_lo, exec_lo, s63
	s_and_saveexec_b32 s63, s72
	s_xor_b32 s63, exec_lo, s63
	s_cbranch_execz .LBB4_316
; %bb.315:                              ;   in Loop: Header=BB4_274 Depth=3
	ds_write_b32 v0, v81
	s_trap 2
.LBB4_316:                              ;   in Loop: Header=BB4_274 Depth=3
	s_or_b32 exec_lo, exec_lo, s62
	;;#ASMSTART
	s_wakeup
	;;#ASMEND
.LBB4_317:                              ;   in Loop: Header=BB4_274 Depth=3
	s_or_b32 exec_lo, exec_lo, s61
.LBB4_318:                              ;   in Loop: Header=BB4_274 Depth=3
	s_andn2_saveexec_b32 s17, s17
	s_cbranch_execz .LBB4_320
; %bb.319:                              ;   in Loop: Header=BB4_274 Depth=3
	s_waitcnt vmcnt(0) lgkmcnt(0)
	s_waitcnt_vscnt null, 0x0
	buffer_gl1_inv
	buffer_gl0_inv
	s_barrier
.LBB4_320:                              ;   in Loop: Header=BB4_274 Depth=3
	s_or_b32 exec_lo, exec_lo, s17
.LBB4_321:                              ;   in Loop: Header=BB4_274 Depth=3
	s_or_b32 exec_lo, exec_lo, s16
	s_trap 2
	ds_read_b32 v3, v0
	v_and_b32_e32 v9, 0x4000, v69
	s_xor_b32 s16, s5, -1
	v_cmp_ne_u32_e32 vcc_lo, 0, v9
	s_and_b32 s17, s16, vcc_lo
	s_and_saveexec_b32 s16, s17
	s_cbranch_execz .LBB4_340
; %bb.322:                              ;   in Loop: Header=BB4_274 Depth=3
	s_and_saveexec_b32 s17, s29
	s_xor_b32 s17, exec_lo, s17
	s_cbranch_execz .LBB4_337
; %bb.323:                              ;   in Loop: Header=BB4_274 Depth=3
	s_and_saveexec_b32 s61, s11
	s_cbranch_execz .LBB4_336
; %bb.324:                              ;   in Loop: Header=BB4_274 Depth=3
	s_mov_b32 s63, exec_lo
	s_mov_b32 s62, exec_lo
	v_mbcnt_lo_u32_b32 v9, s63, 0
	s_waitcnt vmcnt(0) lgkmcnt(0)
	s_waitcnt_vscnt null, 0x0
	buffer_gl1_inv
	buffer_gl0_inv
	v_cmpx_eq_u32_e32 0, v9
	s_cbranch_execz .LBB4_326
; %bb.325:                              ;   in Loop: Header=BB4_274 Depth=3
	s_bcnt1_i32_b32 s63, s63
	v_mov_b32_e32 v49, v2
	v_mov_b32_e32 v48, s63
	ds_add_u64 v0, v[48:49]
	s_trap 2
.LBB4_326:                              ;   in Loop: Header=BB4_274 Depth=3
	s_or_b32 exec_lo, exec_lo, s62
	s_trap 2
	ds_read_b64 v[48:49], v0
	s_waitcnt lgkmcnt(0)
	buffer_gl0_inv
	v_add_co_u32 v12, vcc_lo, v12, v71
	v_add_co_ci_u32_e64 v13, null, 0, v13, vcc_lo
	s_mov_b32 s62, exec_lo
	v_cmpx_lt_u64_e64 v[48:49], v[12:13]
	s_cbranch_execz .LBB4_335
; %bb.327:                              ;   in Loop: Header=BB4_274 Depth=3
	s_mov_b32 s63, 0
	s_mov_b32 s74, 0
                                        ; implicit-def: $sgpr72
                                        ; implicit-def: $sgpr73
	s_inst_prefetch 0x1
	s_branch .LBB4_329
	.p2align	6
.LBB4_328:                              ;   in Loop: Header=BB4_329 Depth=4
	s_or_b32 exec_lo, exec_lo, s76
	s_and_b32 s75, exec_lo, s77
	s_or_b32 s63, s75, s63
	s_andn2_b32 s72, s72, exec_lo
	s_and_b32 s75, s73, exec_lo
	s_or_b32 s72, s72, s75
	s_andn2_b32 exec_lo, exec_lo, s63
	s_cbranch_execz .LBB4_333
.LBB4_329:                              ;   Parent Loop BB4_47 Depth=1
                                        ;     Parent Loop BB4_271 Depth=2
                                        ;       Parent Loop BB4_274 Depth=3
                                        ; =>      This Inner Loop Header: Depth=4
	s_add_i32 s74, s74, 1
	s_cmpk_lg_i32 s74, 0x2710
	s_cselect_b32 s75, -1, 0
	s_and_b32 vcc_lo, exec_lo, s75
	s_cbranch_vccz .LBB4_331
; %bb.330:                              ;   in Loop: Header=BB4_329 Depth=4
	s_mov_b32 s77, -1
	s_or_b32 s73, s73, exec_lo
	s_and_saveexec_b32 s76, s75
	s_cbranch_execz .LBB4_328
	s_branch .LBB4_332
	.p2align	6
.LBB4_331:                              ;   in Loop: Header=BB4_329 Depth=4
	s_trap 2
	ds_read_b64 v[48:49], v0
	s_andn2_b32 s75, s75, exec_lo
	s_mov_b32 s74, 0
	s_waitcnt lgkmcnt(0)
	flat_load_dword v9, v[48:49] glc dlc
	s_waitcnt vmcnt(0) lgkmcnt(0)
	buffer_gl1_inv
	buffer_gl0_inv
	v_cmp_eq_u32_e32 vcc_lo, 0, v9
	s_and_b32 s76, vcc_lo, exec_lo
	s_or_b32 s75, s75, s76
	s_mov_b32 s77, -1
	s_or_b32 s73, s73, exec_lo
	s_and_saveexec_b32 s76, s75
	s_cbranch_execz .LBB4_328
.LBB4_332:                              ;   in Loop: Header=BB4_329 Depth=4
	s_sleep 1
	s_trap 2
	ds_read_b64 v[48:49], v0
	s_waitcnt lgkmcnt(0)
	buffer_gl0_inv
	s_andn2_b32 s73, s73, exec_lo
	v_cmp_ge_u64_e32 vcc_lo, v[48:49], v[12:13]
	s_orn2_b32 s77, vcc_lo, exec_lo
	s_branch .LBB4_328
.LBB4_333:                              ;   in Loop: Header=BB4_274 Depth=3
	s_inst_prefetch 0x2
	s_or_b32 exec_lo, exec_lo, s63
	s_and_saveexec_b32 s63, s72
	s_xor_b32 s63, exec_lo, s63
	s_cbranch_execz .LBB4_335
; %bb.334:                              ;   in Loop: Header=BB4_274 Depth=3
	ds_write_b32 v0, v81
	s_trap 2
.LBB4_335:                              ;   in Loop: Header=BB4_274 Depth=3
	s_or_b32 exec_lo, exec_lo, s62
	;;#ASMSTART
	s_wakeup
	;;#ASMEND
.LBB4_336:                              ;   in Loop: Header=BB4_274 Depth=3
	s_or_b32 exec_lo, exec_lo, s61
.LBB4_337:                              ;   in Loop: Header=BB4_274 Depth=3
	s_andn2_saveexec_b32 s17, s17
	s_cbranch_execz .LBB4_339
; %bb.338:                              ;   in Loop: Header=BB4_274 Depth=3
	s_waitcnt vmcnt(0) lgkmcnt(0)
	s_waitcnt_vscnt null, 0x0
	buffer_gl1_inv
	buffer_gl0_inv
	s_barrier
.LBB4_339:                              ;   in Loop: Header=BB4_274 Depth=3
	s_or_b32 exec_lo, exec_lo, s17
.LBB4_340:                              ;   in Loop: Header=BB4_274 Depth=3
	s_or_b32 exec_lo, exec_lo, s16
	s_trap 2
	ds_read_b64 v[48:49], v0
	s_waitcnt lgkmcnt(0)
	v_cmp_eq_u64_e32 vcc_lo, 0, v[48:49]
	s_cbranch_vccnz .LBB4_348
; %bb.341:                              ;   in Loop: Header=BB4_274 Depth=3
	s_trap 2
	ds_read_b64 v[50:51], v0
	s_waitcnt lgkmcnt(0)
	v_cmp_eq_u64_e32 vcc_lo, 0, v[50:51]
	s_cbranch_vccnz .LBB4_348
; %bb.342:                              ;   in Loop: Header=BB4_274 Depth=3
	s_mov_b32 s16, -1
	s_and_saveexec_b32 s17, s15
	s_cbranch_execz .LBB4_344
; %bb.343:                              ;   in Loop: Header=BB4_274 Depth=3
	ds_read_b32 v9, v0 offset:720
	s_waitcnt lgkmcnt(0)
	v_and_b32_e32 v9, 15, v9
	v_cmp_eq_u32_e32 vcc_lo, 0, v9
	s_orn2_b32 s16, vcc_lo, exec_lo
.LBB4_344:                              ;   in Loop: Header=BB4_274 Depth=3
	s_or_b32 exec_lo, exec_lo, s17
	s_and_saveexec_b32 s17, s14
	s_cbranch_execz .LBB4_346
; %bb.345:                              ;   in Loop: Header=BB4_274 Depth=3
	ds_read_b32 v9, v0 offset:784
	s_waitcnt lgkmcnt(0)
	v_and_b32_e32 v9, 15, v9
	v_cmp_eq_u32_e32 vcc_lo, 0, v9
	s_and_b32 s61, s16, vcc_lo
	s_andn2_b32 s16, s16, exec_lo
	s_and_b32 s61, s61, exec_lo
	s_or_b32 s16, s16, s61
.LBB4_346:                              ;   in Loop: Header=BB4_274 Depth=3
	s_or_b32 exec_lo, exec_lo, s17
	v_cmp_eq_u32_e32 vcc_lo, 0, v3
	s_xor_b32 s16, s16, -1
	v_mov_b32_e32 v55, v0
	v_cndmask_b32_e64 v9, 0, 1, s16
	v_mov_b32_e32 v52, v99
	v_cndmask_b32_e32 v3, 0, v8, vcc_lo
	s_mov_b32 s16, -1
	v_cmp_ne_u32_e32 vcc_lo, 0, v9
	v_mov_b32_e32 v9, 0
	v_mov_b32_e32 v54, v3
	s_cbranch_vccz .LBB4_353
; %bb.347:                              ;   in Loop: Header=BB4_274 Depth=3
	s_and_saveexec_b32 s17, s16
	s_cbranch_execnz .LBB4_366
	s_branch .LBB4_374
.LBB4_348:                              ;   in Loop: Header=BB4_274 Depth=3
	s_mov_b32 s16, 0
	s_and_saveexec_b32 s17, s6
	s_cbranch_execnz .LBB4_375
.LBB4_349:                              ;   in Loop: Header=BB4_274 Depth=3
	s_or_b32 exec_lo, exec_lo, s17
                                        ; implicit-def: $vgpr3
	s_and_saveexec_b32 s17, s13
	s_xor_b32 s17, exec_lo, s17
	s_cbranch_execz .LBB4_393
.LBB4_350:                              ;   in Loop: Header=BB4_274 Depth=3
	v_and_b32_e32 v3, 16, v69
	v_cmp_ne_u32_e32 vcc_lo, 0, v3
	v_and_b32_e32 v3, 16, v69
	s_and_b32 s61, vcc_lo, s16
	s_and_saveexec_b32 s16, s61
	s_cbranch_execz .LBB4_352
; %bb.351:                              ;   in Loop: Header=BB4_274 Depth=3
	v_mov_b32_e32 v3, 1
	s_waitcnt vmcnt(0) lgkmcnt(0)
	s_waitcnt_vscnt null, 0x0
	buffer_gl1_inv
	buffer_gl0_inv
.LBB4_352:                              ;   in Loop: Header=BB4_274 Depth=3
	s_or_b32 exec_lo, exec_lo, s16
	s_andn2_saveexec_b32 s16, s17
	s_cbranch_execz .LBB4_412
	s_branch .LBB4_394
.LBB4_353:                              ;   in Loop: Header=BB4_274 Depth=3
	v_ashrrev_i32_e32 v9, 31, v3
	s_mov_b32 s16, exec_lo
	v_lshrrev_b32_e32 v9, 22, v9
	v_add_nc_u32_e32 v9, v3, v9
	v_ashrrev_i32_e32 v9, 10, v9
	v_sub_nc_u32_e32 v40, v9, v99
	v_cmpx_lt_i32_e32 0, v40
	s_cbranch_execz .LBB4_357
; %bb.354:                              ;   in Loop: Header=BB4_274 Depth=3
	s_trap 2
	ds_read_b64 v[54:55], v0
	v_add_co_u32 v52, vcc_lo, v48, v115
	v_add_co_ci_u32_e64 v53, null, v49, v117, vcc_lo
	s_mov_b32 s17, 0
	s_waitcnt lgkmcnt(0)
	v_add_co_u32 v54, vcc_lo, v54, v115
	v_add_co_ci_u32_e64 v55, null, v55, v117, vcc_lo
	v_add_co_u32 v64, vcc_lo, v50, v115
	v_add_co_ci_u32_e64 v65, null, v51, v117, vcc_lo
.LBB4_355:                              ;   Parent Loop BB4_47 Depth=1
                                        ;     Parent Loop BB4_271 Depth=2
                                        ;       Parent Loop BB4_274 Depth=3
                                        ; =>      This Inner Loop Header: Depth=4
	s_clause 0x1
	global_load_dwordx4 v[41:44], v[52:53], off slc
	global_load_dwordx4 v[56:59], v[52:53], off offset:512 slc
	s_clause 0x1
	global_load_dwordx4 v[60:63], v[54:55], off slc
	global_load_dwordx4 v[72:75], v[54:55], off offset:512 slc
	v_add_co_u32 v52, vcc_lo, v52, v87
	v_sub_nc_u32_e32 v40, v40, v71
	v_add_co_ci_u32_e64 v53, null, 0, v53, vcc_lo
	v_add_co_u32 v54, vcc_lo, v54, v87
	v_add_co_ci_u32_e64 v55, null, 0, v55, vcc_lo
	s_waitcnt vmcnt(3)
	v_lshlrev_b32_sdwa v45, v83, v41 dst_sel:DWORD dst_unused:UNUSED_PAD src0_sel:DWORD src1_sel:BYTE_3
	v_and_b32_e32 v47, 0xff00, v41
	s_waitcnt vmcnt(1)
	v_lshrrev_b32_e32 v76, 8, v60
	v_mul_lo_u32 v46, v60, v41
	v_mul_u32_u24_sdwa v41, v60, v41 dst_sel:DWORD dst_unused:UNUSED_PAD src0_sel:WORD_1 src1_sel:WORD_1
	v_mul_u32_u24_sdwa v45, v60, v45 dst_sel:DWORD dst_unused:UNUSED_PAD src0_sel:BYTE_3 src1_sel:DWORD
	v_lshrrev_b32_e32 v60, 8, v61
	v_mul_u32_u24_e32 v47, v76, v47
	v_perm_b32 v41, v45, v41, 0xc0c0500
	v_lshlrev_b32_sdwa v45, v83, v42 dst_sel:DWORD dst_unused:UNUSED_PAD src0_sel:DWORD src1_sel:BYTE_3
	v_perm_b32 v46, v47, v46, 0xc0c0500
	v_and_b32_e32 v47, 0xff00, v42
	v_mul_u32_u24_sdwa v45, v61, v45 dst_sel:DWORD dst_unused:UNUSED_PAD src0_sel:BYTE_3 src1_sel:DWORD
	v_lshl_or_b32 v41, v41, 16, v46
	v_mul_lo_u32 v46, v61, v42
	v_mul_u32_u24_e32 v47, v60, v47
	v_mul_u32_u24_sdwa v42, v61, v42 dst_sel:DWORD dst_unused:UNUSED_PAD src0_sel:WORD_1 src1_sel:WORD_1
	v_lshrrev_b32_e32 v60, 8, v62
	v_perm_b32 v42, v45, v42, 0xc0c0500
	v_perm_b32 v46, v47, v46, 0xc0c0500
	v_lshlrev_b32_sdwa v45, v83, v43 dst_sel:DWORD dst_unused:UNUSED_PAD src0_sel:DWORD src1_sel:BYTE_3
	v_and_b32_e32 v47, 0xff00, v43
	v_lshl_or_b32 v42, v42, 16, v46
	v_mul_lo_u32 v46, v62, v43
	v_mul_u32_u24_e32 v47, v60, v47
	v_mul_u32_u24_sdwa v43, v62, v43 dst_sel:DWORD dst_unused:UNUSED_PAD src0_sel:WORD_1 src1_sel:WORD_1
	v_mul_u32_u24_sdwa v45, v62, v45 dst_sel:DWORD dst_unused:UNUSED_PAD src0_sel:BYTE_3 src1_sel:DWORD
	v_lshrrev_b32_e32 v60, 8, v63
	v_perm_b32 v43, v45, v43, 0xc0c0500
	v_perm_b32 v46, v47, v46, 0xc0c0500
	v_lshlrev_b32_sdwa v45, v83, v44 dst_sel:DWORD dst_unused:UNUSED_PAD src0_sel:DWORD src1_sel:BYTE_3
	v_and_b32_e32 v47, 0xff00, v44
	v_lshl_or_b32 v43, v43, 16, v46
	v_mul_lo_u32 v46, v63, v44
	v_mul_u32_u24_e32 v47, v60, v47
	v_mul_u32_u24_sdwa v44, v63, v44 dst_sel:DWORD dst_unused:UNUSED_PAD src0_sel:WORD_1 src1_sel:WORD_1
	v_mul_u32_u24_sdwa v45, v63, v45 dst_sel:DWORD dst_unused:UNUSED_PAD src0_sel:BYTE_3 src1_sel:DWORD
	s_waitcnt vmcnt(0)
	v_lshrrev_b32_e32 v60, 8, v72
	v_perm_b32 v46, v47, v46, 0xc0c0500
	v_perm_b32 v44, v45, v44, 0xc0c0500
	v_and_b32_e32 v47, 0xff00, v56
	v_lshlrev_b32_sdwa v45, v83, v56 dst_sel:DWORD dst_unused:UNUSED_PAD src0_sel:DWORD src1_sel:BYTE_3
	v_lshl_or_b32 v44, v44, 16, v46
	v_mul_lo_u32 v46, v72, v56
	v_mul_u32_u24_e32 v47, v60, v47
	v_mul_u32_u24_sdwa v45, v72, v45 dst_sel:DWORD dst_unused:UNUSED_PAD src0_sel:BYTE_3 src1_sel:DWORD
	v_lshrrev_b32_e32 v60, 8, v73
	v_perm_b32 v46, v47, v46, 0xc0c0500
	v_mul_u32_u24_sdwa v47, v72, v56 dst_sel:DWORD dst_unused:UNUSED_PAD src0_sel:WORD_1 src1_sel:WORD_1
	v_perm_b32 v45, v45, v47, 0xc0c0500
	v_and_b32_e32 v47, 0xff00, v57
	v_lshl_or_b32 v56, v45, 16, v46
	v_mul_lo_u32 v46, v73, v57
	v_lshlrev_b32_sdwa v45, v83, v57 dst_sel:DWORD dst_unused:UNUSED_PAD src0_sel:DWORD src1_sel:BYTE_3
	v_mul_u32_u24_e32 v47, v60, v47
	v_lshrrev_b32_e32 v60, 8, v74
	v_mul_u32_u24_sdwa v45, v73, v45 dst_sel:DWORD dst_unused:UNUSED_PAD src0_sel:BYTE_3 src1_sel:DWORD
	v_perm_b32 v46, v47, v46, 0xc0c0500
	v_mul_u32_u24_sdwa v47, v73, v57 dst_sel:DWORD dst_unused:UNUSED_PAD src0_sel:WORD_1 src1_sel:WORD_1
	v_perm_b32 v45, v45, v47, 0xc0c0500
	v_and_b32_e32 v47, 0xff00, v58
	v_lshl_or_b32 v57, v45, 16, v46
	v_mul_lo_u32 v46, v74, v58
	v_lshlrev_b32_sdwa v45, v83, v58 dst_sel:DWORD dst_unused:UNUSED_PAD src0_sel:DWORD src1_sel:BYTE_3
	v_mul_u32_u24_e32 v47, v60, v47
	v_lshrrev_b32_e32 v60, 8, v75
	v_mul_u32_u24_sdwa v45, v74, v45 dst_sel:DWORD dst_unused:UNUSED_PAD src0_sel:BYTE_3 src1_sel:DWORD
	v_perm_b32 v46, v47, v46, 0xc0c0500
	v_mul_u32_u24_sdwa v47, v74, v58 dst_sel:DWORD dst_unused:UNUSED_PAD src0_sel:WORD_1 src1_sel:WORD_1
	v_perm_b32 v45, v45, v47, 0xc0c0500
	v_and_b32_e32 v47, 0xff00, v59
	v_lshl_or_b32 v58, v45, 16, v46
	v_mul_lo_u32 v46, v75, v59
	v_lshlrev_b32_sdwa v45, v83, v59 dst_sel:DWORD dst_unused:UNUSED_PAD src0_sel:DWORD src1_sel:BYTE_3
	v_mul_u32_u24_e32 v47, v60, v47
	v_mul_u32_u24_sdwa v45, v75, v45 dst_sel:DWORD dst_unused:UNUSED_PAD src0_sel:BYTE_3 src1_sel:DWORD
	v_perm_b32 v46, v47, v46, 0xc0c0500
	v_mul_u32_u24_sdwa v47, v75, v59 dst_sel:DWORD dst_unused:UNUSED_PAD src0_sel:WORD_1 src1_sel:WORD_1
	v_perm_b32 v45, v45, v47, 0xc0c0500
	v_lshl_or_b32 v59, v45, 16, v46
	global_store_dwordx4 v[64:65], v[41:44], off glc slc
	global_store_dwordx4 v[64:65], v[56:59], off offset:512 glc slc
	v_add_co_u32 v64, vcc_lo, v64, v87
	v_add_co_ci_u32_e64 v65, null, 0, v65, vcc_lo
	v_cmp_gt_i32_e32 vcc_lo, 1, v40
	s_or_b32 s17, vcc_lo, s17
	s_andn2_b32 exec_lo, exec_lo, s17
	s_cbranch_execnz .LBB4_355
; %bb.356:                              ;   in Loop: Header=BB4_274 Depth=3
	s_or_b32 exec_lo, exec_lo, s17
.LBB4_357:                              ;   in Loop: Header=BB4_274 Depth=3
	s_or_b32 exec_lo, exec_lo, s16
	v_lshlrev_b32_e32 v41, 10, v9
	v_mov_b32_e32 v9, 0
	s_mov_b32 s16, 0
	s_mov_b32 s61, exec_lo
                                        ; implicit-def: $vgpr54
                                        ; implicit-def: $vgpr55
                                        ; implicit-def: $vgpr52
	v_cmpx_ne_u32_e64 v3, v41
	s_cbranch_execz .LBB4_365
; %bb.358:                              ;   in Loop: Header=BB4_274 Depth=3
	v_lshlrev_b32_e32 v9, 5, v40
	v_sub_nc_u32_e32 v53, v3, v41
	s_mov_b32 s62, exec_lo
	v_sub_nc_u32_e32 v9, v101, v9
	v_ashrrev_i32_e32 v54, 31, v53
	v_ashrrev_i32_e32 v52, 31, v9
	v_lshrrev_b32_e32 v54, 23, v54
	v_lshrrev_b32_e32 v52, 27, v52
	v_add_nc_u32_e32 v54, v53, v54
	v_add_nc_u32_e32 v52, v9, v52
	v_and_b32_e32 v40, 0xfffffe00, v54
	v_ashrrev_i32_e32 v54, 9, v54
	v_and_b32_e32 v55, 0xffffffe0, v52
	v_sub_nc_u32_e32 v43, v53, v40
	v_sub_nc_u32_e32 v42, v9, v55
	v_ashrrev_i32_e32 v55, 5, v52
	v_cmp_lt_i32_e32 vcc_lo, 15, v43
	v_lshlrev_b32_e32 v9, 4, v42
	v_add_co_ci_u32_e64 v54, null, 0, v54, vcc_lo
	v_lshl_add_u32 v52, v55, 9, v9
	v_sub_nc_u32_e32 v44, v54, v55
	v_sub_nc_u32_e32 v9, v53, v52
	v_cmpx_lt_i32_e32 15, v9
	s_cbranch_execz .LBB4_362
; %bb.359:                              ;   in Loop: Header=BB4_274 Depth=3
	s_trap 2
	ds_read_b64 v[54:55], v0
	v_add_nc_u32_e32 v64, v52, v41
	s_mov_b32 s63, 0
	v_ashrrev_i32_e32 v65, 31, v64
	v_add_co_u32 v52, s16, v64, v48
	v_add_co_ci_u32_e64 v53, null, v65, v49, s16
	s_waitcnt lgkmcnt(0)
	v_add_co_u32 v54, s16, v54, v64
	v_add_co_ci_u32_e64 v55, null, v55, v65, s16
	v_add_co_u32 v64, s16, v64, v50
	v_add_co_ci_u32_e64 v65, null, v65, v51, s16
.LBB4_360:                              ;   Parent Loop BB4_47 Depth=1
                                        ;     Parent Loop BB4_271 Depth=2
                                        ;       Parent Loop BB4_274 Depth=3
                                        ; =>      This Inner Loop Header: Depth=4
	global_load_dwordx4 v[56:59], v[54:55], off slc
	global_load_dwordx4 v[60:63], v[52:53], off slc
	v_sub_nc_u32_e32 v9, v9, v86
	v_add_co_u32 v52, s16, v52, v86
	v_add_co_ci_u32_e64 v53, null, 0, v53, s16
	v_add_co_u32 v54, s16, v54, v86
	v_add_co_ci_u32_e64 v55, null, 0, v55, s16
	v_cmp_gt_i32_e64 s16, 16, v9
	v_sub_nc_u32_e32 v44, v44, v71
	s_or_b32 s63, s16, s63
	s_waitcnt vmcnt(1)
	v_lshrrev_b32_e32 v45, 8, v56
	v_lshrrev_b32_e32 v46, 8, v57
	;; [unrolled: 1-line block ×4, first 2 shown]
	s_waitcnt vmcnt(0)
	v_lshlrev_b32_sdwa v73, v83, v60 dst_sel:DWORD dst_unused:UNUSED_PAD src0_sel:DWORD src1_sel:BYTE_3
	v_and_b32_e32 v75, 0xff00, v60
	v_lshlrev_b32_sdwa v76, v83, v61 dst_sel:DWORD dst_unused:UNUSED_PAD src0_sel:DWORD src1_sel:BYTE_3
	v_and_b32_e32 v78, 0xff00, v61
	;; [unrolled: 2-line block ×4, first 2 shown]
	v_mul_lo_u32 v74, v56, v60
	v_mul_lo_u32 v77, v57, v61
	;; [unrolled: 1-line block ×4, first 2 shown]
	v_mul_u32_u24_sdwa v60, v56, v60 dst_sel:DWORD dst_unused:UNUSED_PAD src0_sel:WORD_1 src1_sel:WORD_1
	v_mul_u32_u24_sdwa v61, v57, v61 dst_sel:DWORD dst_unused:UNUSED_PAD src0_sel:WORD_1 src1_sel:WORD_1
	v_mul_u32_u24_sdwa v62, v58, v62 dst_sel:DWORD dst_unused:UNUSED_PAD src0_sel:WORD_1 src1_sel:WORD_1
	v_mul_u32_u24_sdwa v63, v59, v63 dst_sel:DWORD dst_unused:UNUSED_PAD src0_sel:WORD_1 src1_sel:WORD_1
	v_mul_u32_u24_e32 v45, v45, v75
	v_mul_u32_u24_sdwa v56, v56, v73 dst_sel:DWORD dst_unused:UNUSED_PAD src0_sel:BYTE_3 src1_sel:DWORD
	v_mul_u32_u24_e32 v46, v46, v78
	v_mul_u32_u24_sdwa v57, v57, v76 dst_sel:DWORD dst_unused:UNUSED_PAD src0_sel:BYTE_3 src1_sel:DWORD
	;; [unrolled: 2-line block ×4, first 2 shown]
	v_perm_b32 v45, v45, v74, 0xc0c0500
	v_perm_b32 v56, v56, v60, 0xc0c0500
	;; [unrolled: 1-line block ×8, first 2 shown]
	v_lshl_or_b32 v56, v56, 16, v45
	v_lshl_or_b32 v57, v57, 16, v46
	;; [unrolled: 1-line block ×4, first 2 shown]
	global_store_dwordx4 v[64:65], v[56:59], off glc slc
	v_add_co_u32 v64, s17, v64, v86
	v_add_co_ci_u32_e64 v65, null, 0, v65, s17
	s_andn2_b32 exec_lo, exec_lo, s63
	s_cbranch_execnz .LBB4_360
; %bb.361:                              ;   in Loop: Header=BB4_274 Depth=3
	s_or_b32 exec_lo, exec_lo, s63
.LBB4_362:                              ;   in Loop: Header=BB4_274 Depth=3
	s_or_b32 exec_lo, exec_lo, s62
	v_and_b32_e32 v53, 15, v3
	v_mov_b32_e32 v9, 0
	s_mov_b32 s17, 0
	s_mov_b32 s62, exec_lo
                                        ; implicit-def: $vgpr55
                                        ; implicit-def: $vgpr52
	v_cndmask_b32_e32 v54, v43, v53, vcc_lo
	v_cmpx_ne_u32_e32 0, v54
	s_cbranch_execz .LBB4_364
; %bb.363:                              ;   in Loop: Header=BB4_274 Depth=3
	v_cmp_lt_i32_e64 s16, 0, v44
	v_sub_nc_u32_e32 v52, v43, v53
	s_mov_b32 s17, exec_lo
	v_cndmask_b32_e64 v9, 0, v71, s16
	v_cndmask_b32_e32 v52, 0, v52, vcc_lo
	v_sub_nc_u32_e32 v9, v9, v44
	v_lshl_add_u32 v55, v9, 5, v42
	v_ashrrev_i32_e32 v9, 31, v55
	v_lshrrev_b32_e32 v9, 27, v9
	v_add_nc_u32_e32 v53, v55, v9
	v_add3_u32 v9, v40, v41, v52
	v_ashrrev_i32_e32 v52, 5, v53
.LBB4_364:                              ;   in Loop: Header=BB4_274 Depth=3
	s_or_b32 exec_lo, exec_lo, s62
	s_and_b32 s16, s17, exec_lo
.LBB4_365:                              ;   in Loop: Header=BB4_274 Depth=3
	s_or_b32 exec_lo, exec_lo, s61
	s_and_saveexec_b32 s17, s16
	s_cbranch_execz .LBB4_374
.LBB4_366:                              ;   in Loop: Header=BB4_274 Depth=3
	v_ashrrev_i32_e32 v53, 31, v54
	s_mov_b32 s16, exec_lo
	v_lshrrev_b32_e32 v53, 23, v53
	v_add_nc_u32_e32 v53, v54, v53
	v_ashrrev_i32_e32 v40, 9, v53
	v_ashrrev_i32_e32 v53, 31, v55
	v_sub_nc_u32_e32 v64, v40, v52
	v_lshrrev_b32_e32 v65, 27, v53
	v_cmpx_lt_i32_e32 0, v64
	s_cbranch_execz .LBB4_370
; %bb.367:                              ;   in Loop: Header=BB4_274 Depth=3
	v_add_nc_u32_e32 v53, v55, v65
	v_lshlrev_b32_e32 v42, 9, v52
	s_trap 2
	v_add_co_u32 v43, vcc_lo, 0x1e0, v50
	v_and_b32_e32 v41, 0xffffffe0, v53
	ds_read_b64 v[52:53], v0
	v_add_co_ci_u32_e64 v44, null, 0, v51, vcc_lo
	s_mov_b32 s61, 0
	v_sub_nc_u32_e32 v41, v55, v41
	v_add3_u32 v41, v9, v41, v42
	v_ashrrev_i32_e32 v42, 31, v41
	v_add_co_u32 v48, vcc_lo, v41, v48
	v_add_co_ci_u32_e64 v49, null, v42, v49, vcc_lo
	s_waitcnt lgkmcnt(0)
	v_add_co_u32 v50, vcc_lo, v52, v41
	v_add_co_ci_u32_e64 v51, null, v53, v42, vcc_lo
	v_add_co_u32 v52, vcc_lo, v43, v41
	v_add_co_ci_u32_e64 v53, null, v44, v42, vcc_lo
.LBB4_368:                              ;   Parent Loop BB4_47 Depth=1
                                        ;     Parent Loop BB4_271 Depth=2
                                        ;       Parent Loop BB4_274 Depth=3
                                        ; =>      This Inner Loop Header: Depth=4
	s_clause 0xf
	flat_load_ubyte v41, v[48:49] slc
	flat_load_ubyte v42, v[48:49] offset:32 slc
	flat_load_ubyte v43, v[48:49] offset:64 slc
	;; [unrolled: 1-line block ×15, first 2 shown]
	s_clause 0xf
	flat_load_ubyte v73, v[50:51] slc
	flat_load_ubyte v74, v[50:51] offset:32 slc
	flat_load_ubyte v75, v[50:51] offset:64 slc
	;; [unrolled: 1-line block ×15, first 2 shown]
	v_sub_nc_u32_e32 v64, v64, v71
	s_waitcnt vmcnt(15) lgkmcnt(15)
	v_mul_lo_u16 v73, v73, v41
	v_add_co_u32 v41, vcc_lo, 0xfffffe20, v52
	s_waitcnt vmcnt(14) lgkmcnt(14)
	v_mul_lo_u16 v74, v74, v42
	v_add_co_ci_u32_e64 v42, null, -1, v53, vcc_lo
	s_waitcnt vmcnt(13) lgkmcnt(13)
	v_mul_lo_u16 v43, v75, v43
	s_waitcnt vmcnt(12) lgkmcnt(12)
	v_mul_lo_u16 v44, v76, v44
	s_waitcnt vmcnt(11) lgkmcnt(11)
	v_mul_lo_u16 v45, v77, v45
	flat_store_byte v[41:42], v73 glc slc
	v_add_co_u32 v41, vcc_lo, 0xfffffe40, v52
	v_add_co_ci_u32_e64 v42, null, -1, v53, vcc_lo
	s_waitcnt vmcnt(10) lgkmcnt(11)
	v_mul_lo_u16 v46, v78, v46
	s_waitcnt vmcnt(9) lgkmcnt(10)
	v_mul_lo_u16 v47, v79, v47
	s_waitcnt vmcnt(8) lgkmcnt(9)
	v_mul_lo_u16 v56, v88, v56
	flat_store_byte v[41:42], v74 glc slc
	v_add_co_u32 v41, vcc_lo, 0xfffffe60, v52
	;; [unrolled: 9-line block ×4, first 2 shown]
	v_add_co_ci_u32_e64 v42, null, -1, v53, vcc_lo
	s_waitcnt vmcnt(1) lgkmcnt(5)
	v_mul_lo_u16 v63, v95, v63
	s_waitcnt vmcnt(0) lgkmcnt(4)
	v_mul_lo_u16 v72, v104, v72
	flat_store_byte v[41:42], v45 glc slc
	v_add_co_u32 v41, vcc_lo, 0xfffffec0, v52
	v_add_co_ci_u32_e64 v42, null, -1, v53, vcc_lo
	flat_store_byte v[41:42], v46 glc slc
	v_add_co_u32 v41, vcc_lo, 0xfffffee0, v52
	v_add_co_ci_u32_e64 v42, null, -1, v53, vcc_lo
	;; [unrolled: 3-line block ×10, first 2 shown]
	v_add_co_u32 v48, vcc_lo, v48, v86
	v_add_co_ci_u32_e64 v49, null, 0, v49, vcc_lo
	v_add_co_u32 v50, vcc_lo, v50, v86
	flat_store_byte v[41:42], v63 glc slc
	flat_store_byte v[52:53], v72 glc slc
	v_add_co_ci_u32_e64 v51, null, 0, v51, vcc_lo
	v_add_co_u32 v52, vcc_lo, v52, v86
	v_add_co_ci_u32_e64 v53, null, 0, v53, vcc_lo
	v_cmp_gt_i32_e32 vcc_lo, 1, v64
	s_or_b32 s61, vcc_lo, s61
	s_andn2_b32 exec_lo, exec_lo, s61
	s_cbranch_execnz .LBB4_368
; %bb.369:                              ;   in Loop: Header=BB4_274 Depth=3
	s_or_b32 exec_lo, exec_lo, s61
.LBB4_370:                              ;   in Loop: Header=BB4_274 Depth=3
	s_or_b32 exec_lo, exec_lo, s16
	v_lshlrev_b32_e32 v48, 9, v40
	v_cmp_ne_u32_e32 vcc_lo, v54, v48
	s_and_b32 exec_lo, exec_lo, vcc_lo
	s_cbranch_execz .LBB4_374
; %bb.371:                              ;   in Loop: Header=BB4_274 Depth=3
	v_add_nc_u32_e32 v49, v55, v65
	v_lshlrev_b32_e32 v50, 5, v64
	v_and_b32_e32 v49, 0xffffffe0, v49
	v_sub_nc_u32_e32 v49, v55, v49
	v_sub_nc_u32_e32 v49, v49, v50
	v_add_nc_u32_e32 v48, v48, v49
	v_sub_nc_u32_e32 v54, v54, v48
	v_cmp_lt_i32_e32 vcc_lo, 0, v54
	s_and_b32 exec_lo, exec_lo, vcc_lo
	s_cbranch_execz .LBB4_374
; %bb.372:                              ;   in Loop: Header=BB4_274 Depth=3
	s_trap 2
	ds_read_b128 v[49:52], v0
	ds_read_b64 v[64:65], v0
	v_add_nc_u32_e32 v9, v48, v9
	s_mov_b32 s61, 0
	v_ashrrev_i32_e32 v53, 31, v9
	s_waitcnt lgkmcnt(1)
	v_add_co_u32 v48, vcc_lo, v49, v9
	v_add_co_ci_u32_e64 v49, null, v50, v53, vcc_lo
	v_add_co_u32 v50, vcc_lo, v51, v9
	v_add_co_ci_u32_e64 v51, null, v52, v53, vcc_lo
	s_waitcnt lgkmcnt(0)
	v_add_co_u32 v52, vcc_lo, v64, v9
	v_add_co_ci_u32_e64 v53, null, v65, v53, vcc_lo
	.p2align	6
.LBB4_373:                              ;   Parent Loop BB4_47 Depth=1
                                        ;     Parent Loop BB4_271 Depth=2
                                        ;       Parent Loop BB4_274 Depth=3
                                        ; =>      This Inner Loop Header: Depth=4
	flat_load_ubyte v9, v[48:49] slc
	flat_load_ubyte v55, v[50:51] slc
	v_sub_nc_u32_e32 v54, v54, v80
	v_add_co_u32 v48, vcc_lo, v48, v80
	v_add_co_ci_u32_e64 v49, null, 0, v49, vcc_lo
	v_add_co_u32 v50, vcc_lo, v50, v80
	v_add_co_ci_u32_e64 v51, null, 0, v51, vcc_lo
	v_cmp_gt_i32_e32 vcc_lo, 1, v54
	s_or_b32 s61, vcc_lo, s61
	s_waitcnt vmcnt(0) lgkmcnt(0)
	v_mul_lo_u16 v9, v55, v9
	flat_store_byte v[52:53], v9 glc slc
	v_add_co_u32 v52, s16, v52, v80
	v_add_co_ci_u32_e64 v53, null, 0, v53, s16
	s_andn2_b32 exec_lo, exec_lo, s61
	s_cbranch_execnz .LBB4_373
.LBB4_374:                              ;   in Loop: Header=BB4_274 Depth=3
	s_or_b32 exec_lo, exec_lo, s17
	v_cmp_lt_i32_e64 s16, 0, v3
	s_and_saveexec_b32 s17, s6
	s_cbranch_execz .LBB4_349
.LBB4_375:                              ;   in Loop: Header=BB4_274 Depth=3
	s_and_saveexec_b32 s61, s29
	s_xor_b32 s61, exec_lo, s61
	s_cbranch_execz .LBB4_390
; %bb.376:                              ;   in Loop: Header=BB4_274 Depth=3
	s_and_saveexec_b32 s62, s11
	s_cbranch_execz .LBB4_389
; %bb.377:                              ;   in Loop: Header=BB4_274 Depth=3
	s_mov_b32 s72, exec_lo
	s_mov_b32 s63, exec_lo
	v_mbcnt_lo_u32_b32 v3, s72, 0
	s_waitcnt vmcnt(0) lgkmcnt(0)
	s_waitcnt_vscnt null, 0x0
	buffer_gl1_inv
	buffer_gl0_inv
	v_cmpx_eq_u32_e32 0, v3
	s_cbranch_execz .LBB4_379
; %bb.378:                              ;   in Loop: Header=BB4_274 Depth=3
	s_bcnt1_i32_b32 s72, s72
	v_mov_b32_e32 v49, v2
	v_mov_b32_e32 v48, s72
	ds_add_u64 v0, v[48:49]
	s_trap 2
.LBB4_379:                              ;   in Loop: Header=BB4_274 Depth=3
	s_or_b32 exec_lo, exec_lo, s63
	s_trap 2
	ds_read_b64 v[48:49], v0
	s_waitcnt lgkmcnt(0)
	buffer_gl0_inv
	v_add_co_u32 v12, vcc_lo, v12, v71
	v_add_co_ci_u32_e64 v13, null, 0, v13, vcc_lo
	s_mov_b32 s63, exec_lo
	v_cmpx_lt_u64_e64 v[48:49], v[12:13]
	s_cbranch_execz .LBB4_388
; %bb.380:                              ;   in Loop: Header=BB4_274 Depth=3
	s_mov_b32 s72, 0
	s_mov_b32 s75, 0
                                        ; implicit-def: $sgpr73
                                        ; implicit-def: $sgpr74
	s_inst_prefetch 0x1
	s_branch .LBB4_382
	.p2align	6
.LBB4_381:                              ;   in Loop: Header=BB4_382 Depth=4
	s_or_b32 exec_lo, exec_lo, s77
	s_and_b32 s76, exec_lo, s78
	s_or_b32 s72, s76, s72
	s_andn2_b32 s73, s73, exec_lo
	s_and_b32 s76, s74, exec_lo
	s_or_b32 s73, s73, s76
	s_andn2_b32 exec_lo, exec_lo, s72
	s_cbranch_execz .LBB4_386
.LBB4_382:                              ;   Parent Loop BB4_47 Depth=1
                                        ;     Parent Loop BB4_271 Depth=2
                                        ;       Parent Loop BB4_274 Depth=3
                                        ; =>      This Inner Loop Header: Depth=4
	s_add_i32 s75, s75, 1
	s_cmpk_lg_i32 s75, 0x2710
	s_cselect_b32 s76, -1, 0
	s_and_b32 vcc_lo, exec_lo, s76
	s_cbranch_vccz .LBB4_384
; %bb.383:                              ;   in Loop: Header=BB4_382 Depth=4
	s_mov_b32 s78, -1
	s_or_b32 s74, s74, exec_lo
	s_and_saveexec_b32 s77, s76
	s_cbranch_execz .LBB4_381
	s_branch .LBB4_385
	.p2align	6
.LBB4_384:                              ;   in Loop: Header=BB4_382 Depth=4
	s_trap 2
	ds_read_b64 v[48:49], v0
	s_andn2_b32 s76, s76, exec_lo
	s_mov_b32 s75, 0
	s_waitcnt lgkmcnt(0)
	flat_load_dword v3, v[48:49] glc dlc
	s_waitcnt vmcnt(0) lgkmcnt(0)
	buffer_gl1_inv
	buffer_gl0_inv
	v_cmp_eq_u32_e32 vcc_lo, 0, v3
	s_and_b32 s77, vcc_lo, exec_lo
	s_or_b32 s76, s76, s77
	s_mov_b32 s78, -1
	s_or_b32 s74, s74, exec_lo
	s_and_saveexec_b32 s77, s76
	s_cbranch_execz .LBB4_381
.LBB4_385:                              ;   in Loop: Header=BB4_382 Depth=4
	s_sleep 1
	s_trap 2
	ds_read_b64 v[48:49], v0
	s_waitcnt lgkmcnt(0)
	buffer_gl0_inv
	s_andn2_b32 s74, s74, exec_lo
	v_cmp_ge_u64_e32 vcc_lo, v[48:49], v[12:13]
	s_orn2_b32 s78, vcc_lo, exec_lo
	s_branch .LBB4_381
.LBB4_386:                              ;   in Loop: Header=BB4_274 Depth=3
	s_inst_prefetch 0x2
	s_or_b32 exec_lo, exec_lo, s72
	s_and_saveexec_b32 s72, s73
	s_xor_b32 s72, exec_lo, s72
	s_cbranch_execz .LBB4_388
; %bb.387:                              ;   in Loop: Header=BB4_274 Depth=3
	ds_write_b32 v0, v81
	s_trap 2
.LBB4_388:                              ;   in Loop: Header=BB4_274 Depth=3
	s_or_b32 exec_lo, exec_lo, s63
	;;#ASMSTART
	s_wakeup
	;;#ASMEND
.LBB4_389:                              ;   in Loop: Header=BB4_274 Depth=3
	s_or_b32 exec_lo, exec_lo, s62
.LBB4_390:                              ;   in Loop: Header=BB4_274 Depth=3
	s_andn2_saveexec_b32 s61, s61
	s_cbranch_execz .LBB4_392
; %bb.391:                              ;   in Loop: Header=BB4_274 Depth=3
	s_waitcnt vmcnt(0) lgkmcnt(0)
	s_waitcnt_vscnt null, 0x0
	buffer_gl1_inv
	buffer_gl0_inv
	s_barrier
.LBB4_392:                              ;   in Loop: Header=BB4_274 Depth=3
	s_or_b32 exec_lo, exec_lo, s61
	s_or_b32 exec_lo, exec_lo, s17
                                        ; implicit-def: $vgpr3
	s_and_saveexec_b32 s17, s13
	s_xor_b32 s17, exec_lo, s17
	s_cbranch_execnz .LBB4_350
.LBB4_393:                              ;   in Loop: Header=BB4_274 Depth=3
	s_andn2_saveexec_b32 s16, s17
	s_cbranch_execz .LBB4_412
.LBB4_394:                              ;   in Loop: Header=BB4_274 Depth=3
	s_and_saveexec_b32 s17, s29
	s_xor_b32 s17, exec_lo, s17
	s_cbranch_execz .LBB4_409
; %bb.395:                              ;   in Loop: Header=BB4_274 Depth=3
	s_and_saveexec_b32 s61, s11
	s_cbranch_execz .LBB4_408
; %bb.396:                              ;   in Loop: Header=BB4_274 Depth=3
	s_mov_b32 s63, exec_lo
	s_mov_b32 s62, exec_lo
	v_mbcnt_lo_u32_b32 v3, s63, 0
	;;#ASMSTART
	s_waitcnt lgkmcnt(0) vmcnt(0)
	;;#ASMEND
	v_cmpx_eq_u32_e32 0, v3
	s_cbranch_execz .LBB4_398
; %bb.397:                              ;   in Loop: Header=BB4_274 Depth=3
	s_bcnt1_i32_b32 s63, s63
	v_mov_b32_e32 v49, v2
	v_mov_b32_e32 v48, s63
	s_waitcnt vmcnt(0) lgkmcnt(0)
	s_waitcnt_vscnt null, 0x0
	ds_add_u64 v0, v[48:49]
	s_trap 2
.LBB4_398:                              ;   in Loop: Header=BB4_274 Depth=3
	s_or_b32 exec_lo, exec_lo, s62
	s_trap 2
	ds_read_b64 v[48:49], v0
	s_waitcnt vmcnt(0) lgkmcnt(0)
	buffer_gl0_inv
	v_add_co_u32 v12, vcc_lo, v12, v71
	v_add_co_ci_u32_e64 v13, null, 0, v13, vcc_lo
	s_mov_b32 s62, exec_lo
	v_cmpx_lt_u64_e64 v[48:49], v[12:13]
	s_cbranch_execz .LBB4_407
; %bb.399:                              ;   in Loop: Header=BB4_274 Depth=3
	s_mov_b32 s63, 0
	s_mov_b32 s74, 0
                                        ; implicit-def: $sgpr72
                                        ; implicit-def: $sgpr73
	s_inst_prefetch 0x1
	s_branch .LBB4_401
	.p2align	6
.LBB4_400:                              ;   in Loop: Header=BB4_401 Depth=4
	s_or_b32 exec_lo, exec_lo, s76
	s_and_b32 s75, exec_lo, s77
	s_or_b32 s63, s75, s63
	s_andn2_b32 s72, s72, exec_lo
	s_and_b32 s75, s73, exec_lo
	s_or_b32 s72, s72, s75
	s_andn2_b32 exec_lo, exec_lo, s63
	s_cbranch_execz .LBB4_405
.LBB4_401:                              ;   Parent Loop BB4_47 Depth=1
                                        ;     Parent Loop BB4_271 Depth=2
                                        ;       Parent Loop BB4_274 Depth=3
                                        ; =>      This Inner Loop Header: Depth=4
	s_add_i32 s74, s74, 1
	s_cmpk_lg_i32 s74, 0x2710
	s_cselect_b32 s75, -1, 0
	s_and_b32 vcc_lo, exec_lo, s75
	s_cbranch_vccz .LBB4_403
; %bb.402:                              ;   in Loop: Header=BB4_401 Depth=4
	s_mov_b32 s77, -1
	s_or_b32 s73, s73, exec_lo
	s_and_saveexec_b32 s76, s75
	s_cbranch_execz .LBB4_400
	s_branch .LBB4_404
	.p2align	6
.LBB4_403:                              ;   in Loop: Header=BB4_401 Depth=4
	s_trap 2
	ds_read_b64 v[48:49], v0
	s_andn2_b32 s75, s75, exec_lo
	s_mov_b32 s74, 0
	s_waitcnt lgkmcnt(0)
	s_waitcnt_vscnt null, 0x0
	flat_load_dword v3, v[48:49] glc dlc
	s_waitcnt vmcnt(0) lgkmcnt(0)
	buffer_gl1_inv
	buffer_gl0_inv
	v_cmp_eq_u32_e32 vcc_lo, 0, v3
	s_and_b32 s76, vcc_lo, exec_lo
	s_or_b32 s75, s75, s76
	s_mov_b32 s77, -1
	s_or_b32 s73, s73, exec_lo
	s_and_saveexec_b32 s76, s75
	s_cbranch_execz .LBB4_400
.LBB4_404:                              ;   in Loop: Header=BB4_401 Depth=4
	s_sleep 1
	s_trap 2
	ds_read_b64 v[48:49], v0
	s_waitcnt lgkmcnt(0)
	buffer_gl0_inv
	s_andn2_b32 s73, s73, exec_lo
	v_cmp_ge_u64_e32 vcc_lo, v[48:49], v[12:13]
	s_orn2_b32 s77, vcc_lo, exec_lo
	s_branch .LBB4_400
.LBB4_405:                              ;   in Loop: Header=BB4_274 Depth=3
	s_inst_prefetch 0x2
	s_or_b32 exec_lo, exec_lo, s63
	s_and_saveexec_b32 s63, s72
	s_xor_b32 s63, exec_lo, s63
	s_cbranch_execz .LBB4_407
; %bb.406:                              ;   in Loop: Header=BB4_274 Depth=3
	ds_write_b32 v0, v81
	s_trap 2
.LBB4_407:                              ;   in Loop: Header=BB4_274 Depth=3
	s_or_b32 exec_lo, exec_lo, s62
	;;#ASMSTART
	s_wakeup
	;;#ASMEND
.LBB4_408:                              ;   in Loop: Header=BB4_274 Depth=3
	s_or_b32 exec_lo, exec_lo, s61
.LBB4_409:                              ;   in Loop: Header=BB4_274 Depth=3
	s_andn2_saveexec_b32 s17, s17
	s_cbranch_execz .LBB4_411
; %bb.410:                              ;   in Loop: Header=BB4_274 Depth=3
	;;#ASMSTART
	s_waitcnt lgkmcnt(0) vmcnt(0)
	;;#ASMEND
	s_barrier
.LBB4_411:                              ;   in Loop: Header=BB4_274 Depth=3
	s_or_b32 exec_lo, exec_lo, s17
	v_and_b32_e32 v3, 16, v69
.LBB4_412:                              ;   in Loop: Header=BB4_274 Depth=3
	s_or_b32 exec_lo, exec_lo, s16
	v_cmp_ne_u32_e32 vcc_lo, 0, v3
	s_xor_b32 s16, s7, -1
	s_and_b32 s17, vcc_lo, s16
	s_and_saveexec_b32 s16, s17
	s_cbranch_execz .LBB4_414
; %bb.413:                              ;   in Loop: Header=BB4_274 Depth=3
	s_waitcnt vmcnt(0) lgkmcnt(0)
	s_waitcnt_vscnt null, 0x0
	flat_store_dword v[24:25], v81
.LBB4_414:                              ;   in Loop: Header=BB4_274 Depth=3
	s_or_b32 exec_lo, exec_lo, s16
	v_and_b32_e32 v3, 48, v69
	s_mov_b32 s16, exec_lo
	v_cmpx_ne_u32_e32 0, v3
	s_cbranch_execz .LBB4_273
; %bb.415:                              ;   in Loop: Header=BB4_274 Depth=3
	v_add_co_u32 v36, vcc_lo, v36, 2
	v_add_co_ci_u32_e64 v37, null, 0, v37, vcc_lo
	s_waitcnt vmcnt(0) lgkmcnt(0)
	s_waitcnt_vscnt null, 0x0
	flat_store_dwordx2 v[20:21], v[36:37]
	s_branch .LBB4_273
.LBB4_416:                              ;   in Loop: Header=BB4_271 Depth=2
	s_or_b32 exec_lo, exec_lo, s21
.LBB4_417:                              ;   in Loop: Header=BB4_271 Depth=2
	s_or_b32 exec_lo, exec_lo, s19
	s_mov_b32 s17, exec_lo
	v_cmpx_gt_i32_e32 2, v3
	s_cbranch_execz .LBB4_270
; %bb.418:                              ;   in Loop: Header=BB4_271 Depth=2
	v_cmp_eq_u32_e64 s21, 0, v3
	s_mov_b32 s19, 0
	s_branch .LBB4_420
.LBB4_419:                              ;   in Loop: Header=BB4_420 Depth=3
	s_or_b32 exec_lo, exec_lo, s16
	v_add_nc_u32_e32 v67, v8, v67
	s_mov_b32 s21, 0
	s_andn2_b32 exec_lo, exec_lo, s19
	s_cbranch_execz .LBB4_269
.LBB4_420:                              ;   Parent Loop BB4_47 Depth=1
                                        ;     Parent Loop BB4_271 Depth=2
                                        ; =>    This Loop Header: Depth=3
                                        ;         Child Loop BB4_426 Depth 4
                                        ;         Child Loop BB4_454 Depth 4
	;; [unrolled: 1-line block ×3, first 2 shown]
	v_sub_nc_u32_e32 v3, v66, v67
	v_and_b32_e32 v9, 12, v69
	s_mov_b32 s22, exec_lo
	v_min_i32_e32 v8, v8, v3
	v_cmpx_ne_u32_e32 0, v9
	s_cbranch_execz .LBB4_446
; %bb.421:                              ;   in Loop: Header=BB4_420 Depth=3
	v_and_b32_e32 v3, 8, v69
	s_mov_b32 s23, exec_lo
	s_waitcnt vmcnt(0) lgkmcnt(1)
	v_add_co_u32 v48, vcc_lo, v26, v3
	v_add_co_ci_u32_e64 v49, null, 0, v27, vcc_lo
	v_add_co_u32 v10, vcc_lo, v36, 2
	v_add_co_ci_u32_e64 v11, null, 0, v37, vcc_lo
	v_cmpx_lt_u64_e64 v[48:49], v[10:11]
	s_cbranch_execz .LBB4_433
; %bb.422:                              ;   in Loop: Header=BB4_420 Depth=3
	v_and_b32_e32 v9, 64, v69
	s_mov_b32 s61, 0
	s_mov_b32 s73, 0
                                        ; implicit-def: $sgpr62
                                        ; implicit-def: $sgpr63
                                        ; implicit-def: $sgpr72
	v_cmp_eq_u32_e32 vcc_lo, 0, v9
	s_branch .LBB4_426
.LBB4_423:                              ;   in Loop: Header=BB4_426 Depth=4
	s_waitcnt vmcnt(0) lgkmcnt(0)
	v_add_co_u32 v48, s16, v26, v3
	v_add_co_ci_u32_e64 v49, null, 0, v27, s16
	s_or_b32 s76, s76, exec_lo
	v_cmp_ge_u64_e64 s16, v[48:49], v[10:11]
	s_orn2_b32 s75, s16, exec_lo
.LBB4_424:                              ;   in Loop: Header=BB4_426 Depth=4
	s_or_b32 exec_lo, exec_lo, s78
	s_andn2_b32 s16, s72, exec_lo
	s_and_b32 s72, s76, exec_lo
	s_andn2_b32 s63, s63, exec_lo
	s_and_b32 s75, s75, exec_lo
	s_or_b32 s72, s16, s72
	s_or_b32 s63, s63, s75
.LBB4_425:                              ;   in Loop: Header=BB4_426 Depth=4
	s_or_b32 exec_lo, exec_lo, s74
	s_and_b32 s16, exec_lo, s63
	s_or_b32 s61, s16, s61
	s_andn2_b32 s16, s62, exec_lo
	s_and_b32 s62, s72, exec_lo
	s_or_b32 s62, s16, s62
	s_andn2_b32 exec_lo, exec_lo, s61
	s_cbranch_execz .LBB4_430
.LBB4_426:                              ;   Parent Loop BB4_47 Depth=1
                                        ;     Parent Loop BB4_271 Depth=2
                                        ;       Parent Loop BB4_420 Depth=3
                                        ; =>      This Inner Loop Header: Depth=4
	s_sleep 1
	s_waitcnt vmcnt(0) lgkmcnt(0)
	flat_load_dwordx2 v[26:27], v[20:21] glc dlc
	s_or_b32 s72, s72, exec_lo
	s_or_b32 s63, s63, exec_lo
                                        ; implicit-def: $vgpr9
	s_and_saveexec_b32 s74, vcc_lo
	s_cbranch_execz .LBB4_425
; %bb.427:                              ;   in Loop: Header=BB4_426 Depth=4
	s_cmpk_lt_i32 s73, 0x270f
	s_mov_b32 s75, -1
	s_cselect_b32 s77, -1, 0
	s_cmpk_gt_i32 s73, 0x270e
	s_cbranch_scc0 .LBB4_429
; %bb.428:                              ;   in Loop: Header=BB4_426 Depth=4
	s_trap 2
	ds_read_b64 v[48:49], v0
	s_andn2_b32 s73, s77, exec_lo
	s_mov_b32 s76, 0
	s_waitcnt vmcnt(0) lgkmcnt(0)
	s_waitcnt_vscnt null, 0x0
	flat_load_dword v9, v[48:49] glc dlc
	s_waitcnt vmcnt(0) lgkmcnt(0)
	buffer_gl1_inv
	buffer_gl0_inv
	v_cmp_eq_u32_e64 s16, 0, v9
	s_and_b32 s16, s16, exec_lo
	s_or_b32 s77, s73, s16
	s_mov_b32 s73, 0
	s_and_saveexec_b32 s78, s77
	s_cbranch_execz .LBB4_424
	s_branch .LBB4_423
.LBB4_429:                              ;   in Loop: Header=BB4_426 Depth=4
	s_add_i32 s73, s73, 1
	s_mov_b32 s76, -1
                                        ; implicit-def: $vgpr9
	s_and_saveexec_b32 s78, s77
	s_cbranch_execz .LBB4_424
	s_branch .LBB4_423
.LBB4_430:                              ;   in Loop: Header=BB4_420 Depth=3
	s_or_b32 exec_lo, exec_lo, s61
	s_xor_b32 s16, s62, -1
	s_and_saveexec_b32 s61, s16
	s_xor_b32 s16, exec_lo, s61
	s_cbranch_execz .LBB4_432
; %bb.431:                              ;   in Loop: Header=BB4_420 Depth=3
	v_or_b32_e32 v69, 64, v69
	s_waitcnt vmcnt(0) lgkmcnt(0)
	s_waitcnt_vscnt null, 0x0
	ds_write_b32 v0, v9
	s_trap 2
.LBB4_432:                              ;   in Loop: Header=BB4_420 Depth=3
	s_or_b32 exec_lo, exec_lo, s16
.LBB4_433:                              ;   in Loop: Header=BB4_420 Depth=3
	s_or_b32 exec_lo, exec_lo, s23
	v_and_b32_e32 v9, 0x108, v69
	s_mov_b32 s16, exec_lo
	;;#ASMSTART
	s_wakeup
	;;#ASMEND
                                        ; implicit-def: $vgpr48_vgpr49
	v_cmpx_ne_u32_e32 0x108, v9
	s_xor_b32 s16, exec_lo, s16
; %bb.434:                              ;   in Loop: Header=BB4_420 Depth=3
	v_and_b32_e32 v48, 7, v36
	v_mov_b32_e32 v49, v2
                                        ; implicit-def: $vgpr36_vgpr37
; %bb.435:                              ;   in Loop: Header=BB4_420 Depth=3
	s_andn2_saveexec_b32 s16, s16
	s_cbranch_execz .LBB4_437
; %bb.436:                              ;   in Loop: Header=BB4_420 Depth=3
	v_and_b32_e32 v48, 7, v36
	v_ashrrev_i32_e32 v9, 31, v8
	v_mov_b32_e32 v49, v2
	v_mad_u64_u32 v[36:37], null, v48, 24, v[6:7]
	flat_store_dwordx2 v[36:37], v[8:9] offset:8
.LBB4_437:                              ;   in Loop: Header=BB4_420 Depth=3
	s_or_b32 exec_lo, exec_lo, s16
	v_and_b32_e32 v9, 0x100, v69
	s_mov_b32 s16, -1
	s_mov_b32 s23, exec_lo
                                        ; implicit-def: $vgpr36_vgpr37
	v_cmpx_ne_u32_e32 0, v9
	s_cbranch_execz .LBB4_441
; %bb.438:                              ;   in Loop: Header=BB4_420 Depth=3
	v_mad_u64_u32 v[50:51], null, v48, 24, v[6:7]
	s_mov_b32 s61, exec_lo
	v_mov_b32_e32 v9, v51
	v_mad_u64_u32 v[36:37], null, v49, 24, v[9:10]
	v_mov_b32_e32 v51, v36
                                        ; implicit-def: $vgpr36_vgpr37
	flat_load_dword v9, v[50:51]
	s_waitcnt vmcnt(0) lgkmcnt(0)
	v_cmp_ne_u32_e32 vcc_lo, 1, v9
	v_cmpx_eq_u32_e32 1, v9
	s_cbranch_execz .LBB4_440
; %bb.439:                              ;   in Loop: Header=BB4_420 Depth=3
	flat_load_dword v36, v[50:51] offset:4 glc dlc
	s_waitcnt vmcnt(0) lgkmcnt(0)
	v_ashrrev_i32_e32 v37, 31, v36
.LBB4_440:                              ;   in Loop: Header=BB4_420 Depth=3
	s_or_b32 exec_lo, exec_lo, s61
	s_orn2_b32 s16, vcc_lo, exec_lo
.LBB4_441:                              ;   in Loop: Header=BB4_420 Depth=3
	s_or_b32 exec_lo, exec_lo, s23
	s_and_saveexec_b32 s23, s16
; %bb.442:                              ;   in Loop: Header=BB4_420 Depth=3
	v_mul_lo_u32 v9, v49, v70
	v_mul_lo_u32 v49, v48, v30
	v_mad_u64_u32 v[36:37], null, v48, v70, 0
	v_add3_u32 v37, v37, v49, v9
; %bb.443:                              ;   in Loop: Header=BB4_420 Depth=3
	s_or_b32 exec_lo, exec_lo, s23
	v_cmp_eq_u32_e32 vcc_lo, 0, v3
	v_and_b32_e32 v9, 0x2000, v69
	s_mov_b32 s16, exec_lo
	v_cndmask_b32_e32 v3, 0xc8, v82, vcc_lo
	v_add_co_u32 v36, vcc_lo, v22, v36
	v_add_co_ci_u32_e64 v37, null, v23, v37, vcc_lo
	v_add_nc_u32_e32 v3, v0, v3
	ds_write_b64 v3, v[36:37] offset:584
	v_cmpx_ne_u32_e32 0, v9
	s_cbranch_execz .LBB4_445
; %bb.444:                              ;   in Loop: Header=BB4_420 Depth=3
	ds_read_b64 v[36:37], v0 offset:872
	s_waitcnt lgkmcnt(0)
	v_add_co_u32 v36, vcc_lo, v36, 1
	v_add_co_ci_u32_e64 v37, null, 0, v37, vcc_lo
	ds_write_b64 v0, v[36:37] offset:872
.LBB4_445:                              ;   in Loop: Header=BB4_420 Depth=3
	s_or_b32 exec_lo, exec_lo, s16
	v_mov_b32_e32 v37, v11
	v_mov_b32_e32 v36, v10
.LBB4_446:                              ;   in Loop: Header=BB4_420 Depth=3
	s_or_b32 exec_lo, exec_lo, s22
	s_xor_b32 s16, s21, -1
	s_and_b32 s16, exec_lo, s16
	s_or_b32 s19, s16, s19
	s_and_saveexec_b32 s16, s6
	s_cbranch_execz .LBB4_465
; %bb.447:                              ;   in Loop: Header=BB4_420 Depth=3
	s_and_saveexec_b32 s21, s29
	s_xor_b32 s21, exec_lo, s21
	s_cbranch_execz .LBB4_462
; %bb.448:                              ;   in Loop: Header=BB4_420 Depth=3
	s_and_saveexec_b32 s22, s11
	s_cbranch_execz .LBB4_461
; %bb.449:                              ;   in Loop: Header=BB4_420 Depth=3
	s_mov_b32 s61, exec_lo
	s_mov_b32 s23, exec_lo
	v_mbcnt_lo_u32_b32 v3, s61, 0
	s_waitcnt vmcnt(0) lgkmcnt(0)
	s_waitcnt_vscnt null, 0x0
	buffer_gl1_inv
	buffer_gl0_inv
	v_cmpx_eq_u32_e32 0, v3
	s_cbranch_execz .LBB4_451
; %bb.450:                              ;   in Loop: Header=BB4_420 Depth=3
	s_bcnt1_i32_b32 s61, s61
	v_mov_b32_e32 v10, v2
	v_mov_b32_e32 v9, s61
	ds_add_u64 v0, v[9:10]
	s_trap 2
.LBB4_451:                              ;   in Loop: Header=BB4_420 Depth=3
	s_or_b32 exec_lo, exec_lo, s23
	s_trap 2
	ds_read_b64 v[9:10], v0
	s_waitcnt lgkmcnt(0)
	buffer_gl0_inv
	v_add_co_u32 v12, vcc_lo, v12, v71
	v_add_co_ci_u32_e64 v13, null, 0, v13, vcc_lo
	s_mov_b32 s23, exec_lo
	v_cmpx_lt_u64_e64 v[9:10], v[12:13]
	s_cbranch_execz .LBB4_460
; %bb.452:                              ;   in Loop: Header=BB4_420 Depth=3
	s_mov_b32 s61, 0
	s_mov_b32 s72, 0
                                        ; implicit-def: $sgpr62
                                        ; implicit-def: $sgpr63
	s_inst_prefetch 0x1
	s_branch .LBB4_454
	.p2align	6
.LBB4_453:                              ;   in Loop: Header=BB4_454 Depth=4
	s_or_b32 exec_lo, exec_lo, s74
	s_and_b32 s73, exec_lo, s75
	s_or_b32 s61, s73, s61
	s_andn2_b32 s62, s62, exec_lo
	s_and_b32 s73, s63, exec_lo
	s_or_b32 s62, s62, s73
	s_andn2_b32 exec_lo, exec_lo, s61
	s_cbranch_execz .LBB4_458
.LBB4_454:                              ;   Parent Loop BB4_47 Depth=1
                                        ;     Parent Loop BB4_271 Depth=2
                                        ;       Parent Loop BB4_420 Depth=3
                                        ; =>      This Inner Loop Header: Depth=4
	s_add_i32 s72, s72, 1
	s_cmpk_lg_i32 s72, 0x2710
	s_cselect_b32 s73, -1, 0
	s_and_b32 vcc_lo, exec_lo, s73
	s_cbranch_vccz .LBB4_456
; %bb.455:                              ;   in Loop: Header=BB4_454 Depth=4
	s_mov_b32 s75, -1
	s_or_b32 s63, s63, exec_lo
	s_and_saveexec_b32 s74, s73
	s_cbranch_execz .LBB4_453
	s_branch .LBB4_457
	.p2align	6
.LBB4_456:                              ;   in Loop: Header=BB4_454 Depth=4
	s_trap 2
	ds_read_b64 v[9:10], v0
	s_andn2_b32 s73, s73, exec_lo
	s_mov_b32 s72, 0
	s_waitcnt lgkmcnt(0)
	flat_load_dword v3, v[9:10] glc dlc
	s_waitcnt vmcnt(0) lgkmcnt(0)
	buffer_gl1_inv
	buffer_gl0_inv
	v_cmp_eq_u32_e32 vcc_lo, 0, v3
	s_and_b32 s74, vcc_lo, exec_lo
	s_or_b32 s73, s73, s74
	s_mov_b32 s75, -1
	s_or_b32 s63, s63, exec_lo
	s_and_saveexec_b32 s74, s73
	s_cbranch_execz .LBB4_453
.LBB4_457:                              ;   in Loop: Header=BB4_454 Depth=4
	s_sleep 1
	s_trap 2
	ds_read_b64 v[9:10], v0
	s_waitcnt lgkmcnt(0)
	buffer_gl0_inv
	s_andn2_b32 s63, s63, exec_lo
	v_cmp_ge_u64_e32 vcc_lo, v[9:10], v[12:13]
	s_orn2_b32 s75, vcc_lo, exec_lo
	s_branch .LBB4_453
.LBB4_458:                              ;   in Loop: Header=BB4_420 Depth=3
	s_inst_prefetch 0x2
	s_or_b32 exec_lo, exec_lo, s61
	s_and_saveexec_b32 s61, s62
	s_xor_b32 s61, exec_lo, s61
	s_cbranch_execz .LBB4_460
; %bb.459:                              ;   in Loop: Header=BB4_420 Depth=3
	ds_write_b32 v0, v81
	s_trap 2
.LBB4_460:                              ;   in Loop: Header=BB4_420 Depth=3
	s_or_b32 exec_lo, exec_lo, s23
	;;#ASMSTART
	s_wakeup
	;;#ASMEND
.LBB4_461:                              ;   in Loop: Header=BB4_420 Depth=3
	s_or_b32 exec_lo, exec_lo, s22
.LBB4_462:                              ;   in Loop: Header=BB4_420 Depth=3
	s_andn2_saveexec_b32 s21, s21
	s_cbranch_execz .LBB4_464
; %bb.463:                              ;   in Loop: Header=BB4_420 Depth=3
	s_waitcnt vmcnt(0) lgkmcnt(0)
	s_waitcnt_vscnt null, 0x0
	buffer_gl1_inv
	buffer_gl0_inv
	s_barrier
.LBB4_464:                              ;   in Loop: Header=BB4_420 Depth=3
	s_or_b32 exec_lo, exec_lo, s21
.LBB4_465:                              ;   in Loop: Header=BB4_420 Depth=3
	s_or_b32 exec_lo, exec_lo, s16
                                        ; implicit-def: $vgpr3
	s_and_saveexec_b32 s16, s47
	s_xor_b32 s16, exec_lo, s16
	s_cbranch_execz .LBB4_477
; %bb.466:                              ;   in Loop: Header=BB4_420 Depth=3
	s_and_saveexec_b32 s21, s29
	s_xor_b32 s21, exec_lo, s21
	s_cbranch_execz .LBB4_482
; %bb.467:                              ;   in Loop: Header=BB4_420 Depth=3
	s_and_saveexec_b32 s22, s11
	s_cbranch_execz .LBB4_481
; %bb.468:                              ;   in Loop: Header=BB4_420 Depth=3
	s_mov_b32 s61, exec_lo
	s_mov_b32 s23, exec_lo
	v_mbcnt_lo_u32_b32 v3, s61, 0
	;;#ASMSTART
	s_waitcnt lgkmcnt(0) vmcnt(0)
	;;#ASMEND
	v_cmpx_eq_u32_e32 0, v3
	s_cbranch_execz .LBB4_470
; %bb.469:                              ;   in Loop: Header=BB4_420 Depth=3
	s_bcnt1_i32_b32 s61, s61
	v_mov_b32_e32 v10, v2
	v_mov_b32_e32 v9, s61
	s_waitcnt vmcnt(0) lgkmcnt(0)
	s_waitcnt_vscnt null, 0x0
	ds_add_u64 v0, v[9:10]
	s_trap 2
.LBB4_470:                              ;   in Loop: Header=BB4_420 Depth=3
	s_or_b32 exec_lo, exec_lo, s23
	s_trap 2
	ds_read_b64 v[9:10], v0
	s_waitcnt vmcnt(0) lgkmcnt(0)
	buffer_gl0_inv
	v_add_co_u32 v12, vcc_lo, v12, v71
	v_add_co_ci_u32_e64 v13, null, 0, v13, vcc_lo
	s_mov_b32 s23, exec_lo
	v_cmpx_lt_u64_e64 v[9:10], v[12:13]
	s_cbranch_execz .LBB4_480
; %bb.471:                              ;   in Loop: Header=BB4_420 Depth=3
	s_mov_b32 s61, 0
	s_mov_b32 s72, 0
                                        ; implicit-def: $sgpr62
                                        ; implicit-def: $sgpr63
	s_inst_prefetch 0x1
	s_branch .LBB4_473
	.p2align	6
.LBB4_472:                              ;   in Loop: Header=BB4_473 Depth=4
	s_or_b32 exec_lo, exec_lo, s74
	s_and_b32 s73, exec_lo, s75
	s_or_b32 s61, s73, s61
	s_andn2_b32 s62, s62, exec_lo
	s_and_b32 s73, s63, exec_lo
	s_or_b32 s62, s62, s73
	s_andn2_b32 exec_lo, exec_lo, s61
	s_cbranch_execz .LBB4_478
.LBB4_473:                              ;   Parent Loop BB4_47 Depth=1
                                        ;     Parent Loop BB4_271 Depth=2
                                        ;       Parent Loop BB4_420 Depth=3
                                        ; =>      This Inner Loop Header: Depth=4
	s_add_i32 s72, s72, 1
	s_cmpk_lg_i32 s72, 0x2710
	s_cselect_b32 s73, -1, 0
	s_and_b32 vcc_lo, exec_lo, s73
	s_cbranch_vccz .LBB4_475
; %bb.474:                              ;   in Loop: Header=BB4_473 Depth=4
	s_mov_b32 s75, -1
	s_or_b32 s63, s63, exec_lo
	s_and_saveexec_b32 s74, s73
	s_cbranch_execz .LBB4_472
	s_branch .LBB4_476
	.p2align	6
.LBB4_475:                              ;   in Loop: Header=BB4_473 Depth=4
	s_trap 2
	ds_read_b64 v[9:10], v0
	s_andn2_b32 s73, s73, exec_lo
	s_mov_b32 s72, 0
	s_waitcnt lgkmcnt(0)
	s_waitcnt_vscnt null, 0x0
	flat_load_dword v3, v[9:10] glc dlc
	s_waitcnt vmcnt(0) lgkmcnt(0)
	buffer_gl1_inv
	buffer_gl0_inv
	v_cmp_eq_u32_e32 vcc_lo, 0, v3
	s_and_b32 s74, vcc_lo, exec_lo
	s_or_b32 s73, s73, s74
	s_mov_b32 s75, -1
	s_or_b32 s63, s63, exec_lo
	s_and_saveexec_b32 s74, s73
	s_cbranch_execz .LBB4_472
.LBB4_476:                              ;   in Loop: Header=BB4_473 Depth=4
	s_sleep 1
	s_trap 2
	ds_read_b64 v[9:10], v0
	s_waitcnt lgkmcnt(0)
	buffer_gl0_inv
	s_andn2_b32 s63, s63, exec_lo
	v_cmp_ge_u64_e32 vcc_lo, v[9:10], v[12:13]
	s_orn2_b32 s75, vcc_lo, exec_lo
	s_branch .LBB4_472
.LBB4_477:                              ;   in Loop: Header=BB4_420 Depth=3
	s_andn2_saveexec_b32 s21, s16
	s_cbranch_execnz .LBB4_485
	s_branch .LBB4_488
.LBB4_478:                              ;   in Loop: Header=BB4_420 Depth=3
	s_inst_prefetch 0x2
	s_or_b32 exec_lo, exec_lo, s61
	s_and_saveexec_b32 s61, s62
	s_xor_b32 s61, exec_lo, s61
	s_cbranch_execz .LBB4_480
; %bb.479:                              ;   in Loop: Header=BB4_420 Depth=3
	ds_write_b32 v0, v81
	s_trap 2
.LBB4_480:                              ;   in Loop: Header=BB4_420 Depth=3
	s_or_b32 exec_lo, exec_lo, s23
	;;#ASMSTART
	s_wakeup
	;;#ASMEND
.LBB4_481:                              ;   in Loop: Header=BB4_420 Depth=3
	s_or_b32 exec_lo, exec_lo, s22
.LBB4_482:                              ;   in Loop: Header=BB4_420 Depth=3
	s_andn2_saveexec_b32 s21, s21
	s_cbranch_execz .LBB4_484
; %bb.483:                              ;   in Loop: Header=BB4_420 Depth=3
	;;#ASMSTART
	s_waitcnt lgkmcnt(0) vmcnt(0)
	;;#ASMEND
	s_barrier
.LBB4_484:                              ;   in Loop: Header=BB4_420 Depth=3
	s_or_b32 exec_lo, exec_lo, s21
	v_and_b32_e32 v3, 16, v69
	s_andn2_saveexec_b32 s21, s16
	s_cbranch_execz .LBB4_488
.LBB4_485:                              ;   in Loop: Header=BB4_420 Depth=3
	s_trap 2
	ds_read_b32 v3, v0
	v_cmp_lt_i32_e32 vcc_lo, 0, v8
	s_waitcnt lgkmcnt(0)
	v_readfirstlane_b32 s16, v3
	v_and_b32_e32 v3, 16, v69
	s_cmp_eq_u32 s16, 0
	v_cmp_ne_u32_e64 s16, 0, v3
	s_cselect_b32 s22, -1, 0
	v_and_b32_e32 v3, 16, v69
	s_and_b32 s22, vcc_lo, s22
	s_and_b32 s22, s16, s22
	s_and_saveexec_b32 s16, s22
	s_cbranch_execz .LBB4_487
; %bb.486:                              ;   in Loop: Header=BB4_420 Depth=3
	v_mov_b32_e32 v3, 1
	s_waitcnt vmcnt(0)
	s_waitcnt_vscnt null, 0x0
	buffer_gl1_inv
	buffer_gl0_inv
.LBB4_487:                              ;   in Loop: Header=BB4_420 Depth=3
	s_or_b32 exec_lo, exec_lo, s16
.LBB4_488:                              ;   in Loop: Header=BB4_420 Depth=3
	s_or_b32 exec_lo, exec_lo, s21
	v_cmp_ne_u32_e32 vcc_lo, 0, v3
	s_xor_b32 s16, s7, -1
	s_and_b32 s21, vcc_lo, s16
	s_and_saveexec_b32 s16, s21
	s_cbranch_execz .LBB4_490
; %bb.489:                              ;   in Loop: Header=BB4_420 Depth=3
	s_waitcnt vmcnt(0) lgkmcnt(0)
	s_waitcnt_vscnt null, 0x0
	flat_store_dword v[24:25], v81
.LBB4_490:                              ;   in Loop: Header=BB4_420 Depth=3
	s_or_b32 exec_lo, exec_lo, s16
	v_and_b32_e32 v3, 48, v69
	s_mov_b32 s16, exec_lo
	v_cmpx_ne_u32_e32 0, v3
	s_cbranch_execz .LBB4_419
; %bb.491:                              ;   in Loop: Header=BB4_420 Depth=3
	v_add_co_u32 v36, vcc_lo, v36, 2
	v_add_co_ci_u32_e64 v37, null, 0, v37, vcc_lo
	s_waitcnt vmcnt(0) lgkmcnt(0)
	s_waitcnt_vscnt null, 0x0
	flat_store_dwordx2 v[20:21], v[36:37]
	s_branch .LBB4_419
.LBB4_492:                              ;   in Loop: Header=BB4_47 Depth=1
	v_mul_lo_u32 v3, v35, s25
	v_mul_lo_u32 v10, v34, s28
	v_mad_u64_u32 v[8:9], null, v34, s25, 0
	v_mov_b32_e32 v55, 0
	v_add3_u32 v9, v9, v10, v3
	v_sub_co_u32 v10, vcc_lo, v38, v8
	v_sub_co_ci_u32_e64 v11, null, v39, v9, vcc_lo
	v_cmp_lt_i64_e32 vcc_lo, v[34:35], v[10:11]
	v_cndmask_b32_e32 v11, v10, v34, vcc_lo
	v_max_i32_e32 v3, 0, v11
	v_cmp_lt_i32_e32 vcc_lo, 0, v11
	v_add_nc_u32_e32 v10, 31, v3
	s_and_b32 s16, s57, vcc_lo
	v_lshrrev_b32_e32 v10, 1, v10
	v_and_b32_e32 v48, 0x3ffffff0, v10
	v_mov_b32_e32 v10, 0
	v_max_i32_e32 v48, s45, v48
	s_and_saveexec_b32 s21, s16
	s_cbranch_execz .LBB4_673
; %bb.493:                              ;   in Loop: Header=BB4_47 Depth=1
	v_add_co_u32 v40, vcc_lo, v8, v118
	v_add_co_ci_u32_e64 v41, null, v9, v119, vcc_lo
	v_mov_b32_e32 v55, 0
	s_mov_b32 s63, 1
	s_mov_b32 s62, -1
	s_mov_b32 s61, 0
	s_branch .LBB4_495
.LBB4_494:                              ;   in Loop: Header=BB4_495 Depth=2
	s_or_b32 exec_lo, exec_lo, s16
	v_add_nc_u32_e32 v55, v48, v55
	s_xor_b32 s16, s62, -1
	v_mov_b32_e32 v10, s63
	s_mov_b32 s62, 0
	s_mov_b32 s63, 2
	v_cmp_ge_i32_e32 vcc_lo, v55, v3
	s_or_b32 s16, s16, vcc_lo
	s_and_b32 s16, exec_lo, s16
	s_or_b32 s61, s16, s61
	s_andn2_b32 exec_lo, exec_lo, s61
	s_cbranch_execz .LBB4_672
.LBB4_495:                              ;   Parent Loop BB4_47 Depth=1
                                        ; =>  This Loop Header: Depth=2
                                        ;       Child Loop BB4_503 Depth 3
                                        ;       Child Loop BB4_531 Depth 3
	;; [unrolled: 1-line block ×5, first 2 shown]
                                        ;         Child Loop BB4_583 Depth 4
                                        ;       Child Loop BB4_592 Depth 3
                                        ;       Child Loop BB4_597 Depth 3
                                        ;         Child Loop BB4_598 Depth 4
                                        ;       Child Loop BB4_610 Depth 3
                                        ;       Child Loop BB4_615 Depth 3
	;; [unrolled: 1-line block ×6, first 2 shown]
	s_and_saveexec_b32 s17, s4
	s_cbranch_execz .LBB4_497
; %bb.496:                              ;   in Loop: Header=BB4_495 Depth=2
	s_trap 2
	ds_read2_b64 v[8:11], v0 offset1:1
	ds_read_b64 v[49:50], v0
	v_ashrrev_i32_e32 v51, 31, v55
	s_waitcnt lgkmcnt(1)
	v_add_co_u32 v8, vcc_lo, v8, v40
	v_add_co_ci_u32_e64 v9, null, v9, v41, vcc_lo
	v_add_co_u32 v10, vcc_lo, v10, v40
	v_add_co_ci_u32_e64 v11, null, v11, v41, vcc_lo
	s_waitcnt lgkmcnt(0)
	v_add_co_u32 v52, vcc_lo, v49, v40
	v_add_co_ci_u32_e64 v53, null, v50, v41, vcc_lo
	v_add_co_u32 v8, vcc_lo, v8, v55
	v_add_co_ci_u32_e64 v9, null, v9, v51, vcc_lo
	;; [unrolled: 2-line block ×3, first 2 shown]
	v_cmp_ne_u64_e32 vcc_lo, 0, v[49:50]
	v_add_co_u32 v10, s16, v10, v55
	v_add_co_ci_u32_e64 v11, null, v11, v51, s16
	v_cndmask_b32_e32 v50, 0, v53, vcc_lo
	v_cndmask_b32_e32 v49, 0, v52, vcc_lo
	ds_write_b64 v0, v[8:9]
	ds_write_b64 v0, v[10:11]
	;; [unrolled: 1-line block ×3, first 2 shown]
.LBB4_497:                              ;   in Loop: Header=BB4_495 Depth=2
	s_or_b32 exec_lo, exec_lo, s17
	v_sub_nc_u32_e32 v8, v3, v55
	v_and_b32_e32 v9, 12, v69
	s_mov_b32 s17, exec_lo
	v_min_i32_e32 v48, v48, v8
	v_cmpx_ne_u32_e32 0, v9
	s_cbranch_execz .LBB4_523
; %bb.498:                              ;   in Loop: Header=BB4_495 Depth=2
	v_and_b32_e32 v51, 8, v69
	s_mov_b32 s18, exec_lo
	s_waitcnt vmcnt(0) lgkmcnt(1)
	v_add_co_u32 v10, vcc_lo, v26, v51
	v_add_co_ci_u32_e64 v11, null, 0, v27, vcc_lo
	v_add_co_u32 v8, vcc_lo, v36, 2
	v_add_co_ci_u32_e64 v9, null, 0, v37, vcc_lo
	v_cmpx_lt_u64_e64 v[10:11], v[8:9]
	s_cbranch_execz .LBB4_510
; %bb.499:                              ;   in Loop: Header=BB4_495 Depth=2
	v_and_b32_e32 v10, 64, v69
	s_mov_b32 s19, 0
	s_mov_b32 s73, 0
                                        ; implicit-def: $sgpr22
                                        ; implicit-def: $sgpr23
                                        ; implicit-def: $sgpr72
	v_cmp_eq_u32_e32 vcc_lo, 0, v10
	s_branch .LBB4_503
.LBB4_500:                              ;   in Loop: Header=BB4_503 Depth=3
	s_waitcnt vmcnt(0) lgkmcnt(0)
	v_add_co_u32 v49, s16, v26, v51
	v_add_co_ci_u32_e64 v50, null, 0, v27, s16
	s_or_b32 s76, s76, exec_lo
	v_cmp_ge_u64_e64 s16, v[49:50], v[8:9]
	s_orn2_b32 s75, s16, exec_lo
.LBB4_501:                              ;   in Loop: Header=BB4_503 Depth=3
	s_or_b32 exec_lo, exec_lo, s78
	s_andn2_b32 s16, s72, exec_lo
	s_and_b32 s72, s76, exec_lo
	s_andn2_b32 s23, s23, exec_lo
	s_and_b32 s75, s75, exec_lo
	s_or_b32 s72, s16, s72
	s_or_b32 s23, s23, s75
.LBB4_502:                              ;   in Loop: Header=BB4_503 Depth=3
	s_or_b32 exec_lo, exec_lo, s74
	s_and_b32 s16, exec_lo, s23
	s_or_b32 s19, s16, s19
	s_andn2_b32 s16, s22, exec_lo
	s_and_b32 s22, s72, exec_lo
	s_or_b32 s22, s16, s22
	s_andn2_b32 exec_lo, exec_lo, s19
	s_cbranch_execz .LBB4_507
.LBB4_503:                              ;   Parent Loop BB4_47 Depth=1
                                        ;     Parent Loop BB4_495 Depth=2
                                        ; =>    This Inner Loop Header: Depth=3
	s_sleep 1
	s_waitcnt vmcnt(0) lgkmcnt(0)
	flat_load_dwordx2 v[26:27], v[20:21] glc dlc
	s_or_b32 s72, s72, exec_lo
	s_or_b32 s23, s23, exec_lo
                                        ; implicit-def: $vgpr10
	s_and_saveexec_b32 s74, vcc_lo
	s_cbranch_execz .LBB4_502
; %bb.504:                              ;   in Loop: Header=BB4_503 Depth=3
	s_cmpk_lt_i32 s73, 0x270f
	s_mov_b32 s75, -1
	s_cselect_b32 s77, -1, 0
	s_cmpk_gt_i32 s73, 0x270e
	s_cbranch_scc0 .LBB4_506
; %bb.505:                              ;   in Loop: Header=BB4_503 Depth=3
	s_trap 2
	ds_read_b64 v[10:11], v0
	s_andn2_b32 s73, s77, exec_lo
	s_mov_b32 s76, 0
	s_waitcnt vmcnt(0) lgkmcnt(0)
	s_waitcnt_vscnt null, 0x0
	flat_load_dword v10, v[10:11] glc dlc
	s_waitcnt vmcnt(0) lgkmcnt(0)
	buffer_gl1_inv
	buffer_gl0_inv
	v_cmp_eq_u32_e64 s16, 0, v10
	s_and_b32 s16, s16, exec_lo
	s_or_b32 s77, s73, s16
	s_mov_b32 s73, 0
	s_and_saveexec_b32 s78, s77
	s_cbranch_execz .LBB4_501
	s_branch .LBB4_500
.LBB4_506:                              ;   in Loop: Header=BB4_503 Depth=3
	s_add_i32 s73, s73, 1
	s_mov_b32 s76, -1
                                        ; implicit-def: $vgpr10
	s_and_saveexec_b32 s78, s77
	s_cbranch_execz .LBB4_501
	s_branch .LBB4_500
.LBB4_507:                              ;   in Loop: Header=BB4_495 Depth=2
	s_or_b32 exec_lo, exec_lo, s19
	s_xor_b32 s16, s22, -1
	s_and_saveexec_b32 s19, s16
	s_xor_b32 s16, exec_lo, s19
	s_cbranch_execz .LBB4_509
; %bb.508:                              ;   in Loop: Header=BB4_495 Depth=2
	v_or_b32_e32 v69, 64, v69
	s_waitcnt vmcnt(0) lgkmcnt(0)
	s_waitcnt_vscnt null, 0x0
	ds_write_b32 v0, v10
	s_trap 2
.LBB4_509:                              ;   in Loop: Header=BB4_495 Depth=2
	s_or_b32 exec_lo, exec_lo, s16
.LBB4_510:                              ;   in Loop: Header=BB4_495 Depth=2
	s_or_b32 exec_lo, exec_lo, s18
	v_and_b32_e32 v10, 0x108, v69
	;;#ASMSTART
	s_wakeup
	;;#ASMEND
	v_cmp_ne_u32_e32 vcc_lo, 0x108, v10
                                        ; implicit-def: $vgpr10_vgpr11
	s_and_saveexec_b32 s16, vcc_lo
	s_xor_b32 s16, exec_lo, s16
; %bb.511:                              ;   in Loop: Header=BB4_495 Depth=2
	v_and_b32_e32 v10, 7, v36
	v_mov_b32_e32 v11, v2
                                        ; implicit-def: $vgpr36_vgpr37
; %bb.512:                              ;   in Loop: Header=BB4_495 Depth=2
	s_andn2_saveexec_b32 s16, s16
	s_cbranch_execz .LBB4_514
; %bb.513:                              ;   in Loop: Header=BB4_495 Depth=2
	v_and_b32_e32 v10, 7, v36
	v_ashrrev_i32_e32 v49, 31, v48
	v_mov_b32_e32 v11, v2
	v_mad_u64_u32 v[36:37], null, v10, 24, v[6:7]
	flat_store_dwordx2 v[36:37], v[48:49] offset:8
.LBB4_514:                              ;   in Loop: Header=BB4_495 Depth=2
	s_or_b32 exec_lo, exec_lo, s16
	v_and_b32_e32 v36, 0x100, v69
	s_mov_b32 s16, -1
	v_cmp_ne_u32_e32 vcc_lo, 0, v36
                                        ; implicit-def: $vgpr36_vgpr37
	s_and_saveexec_b32 s18, vcc_lo
	s_cbranch_execz .LBB4_518
; %bb.515:                              ;   in Loop: Header=BB4_495 Depth=2
	v_mad_u64_u32 v[49:50], null, v10, 24, v[6:7]
	v_mov_b32_e32 v36, v50
	v_mad_u64_u32 v[36:37], null, v11, 24, v[36:37]
	v_mov_b32_e32 v50, v36
	flat_load_dword v36, v[49:50]
	s_waitcnt vmcnt(0) lgkmcnt(0)
	v_cmp_eq_u32_e64 s16, 1, v36
	v_cmp_ne_u32_e32 vcc_lo, 1, v36
                                        ; implicit-def: $vgpr36_vgpr37
	s_and_saveexec_b32 s19, s16
	s_cbranch_execz .LBB4_517
; %bb.516:                              ;   in Loop: Header=BB4_495 Depth=2
	flat_load_dword v36, v[49:50] offset:4 glc dlc
	s_waitcnt vmcnt(0) lgkmcnt(0)
	v_ashrrev_i32_e32 v37, 31, v36
.LBB4_517:                              ;   in Loop: Header=BB4_495 Depth=2
	s_or_b32 exec_lo, exec_lo, s19
	s_orn2_b32 s16, vcc_lo, exec_lo
.LBB4_518:                              ;   in Loop: Header=BB4_495 Depth=2
	s_or_b32 exec_lo, exec_lo, s18
	s_and_saveexec_b32 s18, s16
; %bb.519:                              ;   in Loop: Header=BB4_495 Depth=2
	v_mul_lo_u32 v11, v11, v70
	v_mul_lo_u32 v49, v10, v30
	v_mad_u64_u32 v[36:37], null, v10, v70, 0
	v_add3_u32 v37, v37, v49, v11
; %bb.520:                              ;   in Loop: Header=BB4_495 Depth=2
	s_or_b32 exec_lo, exec_lo, s18
	v_cmp_eq_u32_e32 vcc_lo, 0, v51
	v_and_b32_e32 v50, 0x2000, v69
	s_mov_b32 s16, exec_lo
	v_cndmask_b32_e32 v49, 0xd0, v82, vcc_lo
	v_add_co_u32 v10, vcc_lo, v22, v36
	v_add_co_ci_u32_e64 v11, null, v23, v37, vcc_lo
	v_add_nc_u32_e32 v36, v0, v49
	ds_write_b64 v36, v[10:11] offset:584
	v_cmpx_ne_u32_e32 0, v50
	s_cbranch_execz .LBB4_522
; %bb.521:                              ;   in Loop: Header=BB4_495 Depth=2
	ds_read_b64 v[10:11], v0 offset:872
	s_waitcnt lgkmcnt(0)
	v_add_co_u32 v10, vcc_lo, v10, 1
	v_add_co_ci_u32_e64 v11, null, 0, v11, vcc_lo
	ds_write_b64 v0, v[10:11] offset:872
.LBB4_522:                              ;   in Loop: Header=BB4_495 Depth=2
	s_or_b32 exec_lo, exec_lo, s16
	v_mov_b32_e32 v37, v9
	v_mov_b32_e32 v36, v8
.LBB4_523:                              ;   in Loop: Header=BB4_495 Depth=2
	s_or_b32 exec_lo, exec_lo, s17
	s_and_saveexec_b32 s16, s6
	s_cbranch_execz .LBB4_542
; %bb.524:                              ;   in Loop: Header=BB4_495 Depth=2
	s_and_saveexec_b32 s17, s29
	s_xor_b32 s17, exec_lo, s17
	s_cbranch_execz .LBB4_539
; %bb.525:                              ;   in Loop: Header=BB4_495 Depth=2
	s_and_saveexec_b32 s18, s11
	s_cbranch_execz .LBB4_538
; %bb.526:                              ;   in Loop: Header=BB4_495 Depth=2
	s_mov_b32 s22, exec_lo
	s_mov_b32 s19, exec_lo
	v_mbcnt_lo_u32_b32 v8, s22, 0
	s_waitcnt vmcnt(0) lgkmcnt(0)
	s_waitcnt_vscnt null, 0x0
	buffer_gl1_inv
	buffer_gl0_inv
	v_cmpx_eq_u32_e32 0, v8
	s_cbranch_execz .LBB4_528
; %bb.527:                              ;   in Loop: Header=BB4_495 Depth=2
	s_bcnt1_i32_b32 s22, s22
	v_mov_b32_e32 v9, v2
	v_mov_b32_e32 v8, s22
	ds_add_u64 v0, v[8:9]
	s_trap 2
.LBB4_528:                              ;   in Loop: Header=BB4_495 Depth=2
	s_or_b32 exec_lo, exec_lo, s19
	s_trap 2
	ds_read_b64 v[8:9], v0
	s_waitcnt lgkmcnt(0)
	buffer_gl0_inv
	v_add_co_u32 v12, vcc_lo, v12, v71
	v_add_co_ci_u32_e64 v13, null, 0, v13, vcc_lo
	s_mov_b32 s19, exec_lo
	v_cmpx_lt_u64_e64 v[8:9], v[12:13]
	s_cbranch_execz .LBB4_537
; %bb.529:                              ;   in Loop: Header=BB4_495 Depth=2
	s_mov_b32 s22, 0
	s_mov_b32 s73, 0
                                        ; implicit-def: $sgpr23
                                        ; implicit-def: $sgpr72
	s_inst_prefetch 0x1
	s_branch .LBB4_531
	.p2align	6
.LBB4_530:                              ;   in Loop: Header=BB4_531 Depth=3
	s_or_b32 exec_lo, exec_lo, s75
	s_and_b32 s74, exec_lo, s76
	s_or_b32 s22, s74, s22
	s_andn2_b32 s23, s23, exec_lo
	s_and_b32 s74, s72, exec_lo
	s_or_b32 s23, s23, s74
	s_andn2_b32 exec_lo, exec_lo, s22
	s_cbranch_execz .LBB4_535
.LBB4_531:                              ;   Parent Loop BB4_47 Depth=1
                                        ;     Parent Loop BB4_495 Depth=2
                                        ; =>    This Inner Loop Header: Depth=3
	s_add_i32 s73, s73, 1
	s_cmpk_lg_i32 s73, 0x2710
	s_cselect_b32 s74, -1, 0
	s_and_b32 vcc_lo, exec_lo, s74
	s_cbranch_vccz .LBB4_533
; %bb.532:                              ;   in Loop: Header=BB4_531 Depth=3
	s_mov_b32 s76, -1
	s_or_b32 s72, s72, exec_lo
	s_and_saveexec_b32 s75, s74
	s_cbranch_execz .LBB4_530
	s_branch .LBB4_534
	.p2align	6
.LBB4_533:                              ;   in Loop: Header=BB4_531 Depth=3
	s_trap 2
	ds_read_b64 v[8:9], v0
	s_andn2_b32 s74, s74, exec_lo
	s_mov_b32 s73, 0
	s_waitcnt lgkmcnt(0)
	flat_load_dword v8, v[8:9] glc dlc
	s_waitcnt vmcnt(0) lgkmcnt(0)
	buffer_gl1_inv
	buffer_gl0_inv
	v_cmp_eq_u32_e32 vcc_lo, 0, v8
	s_and_b32 s75, vcc_lo, exec_lo
	s_or_b32 s74, s74, s75
	s_mov_b32 s76, -1
	s_or_b32 s72, s72, exec_lo
	s_and_saveexec_b32 s75, s74
	s_cbranch_execz .LBB4_530
.LBB4_534:                              ;   in Loop: Header=BB4_531 Depth=3
	s_sleep 1
	s_trap 2
	ds_read_b64 v[8:9], v0
	s_waitcnt lgkmcnt(0)
	buffer_gl0_inv
	s_andn2_b32 s72, s72, exec_lo
	v_cmp_ge_u64_e32 vcc_lo, v[8:9], v[12:13]
	s_orn2_b32 s76, vcc_lo, exec_lo
	s_branch .LBB4_530
.LBB4_535:                              ;   in Loop: Header=BB4_495 Depth=2
	s_inst_prefetch 0x2
	s_or_b32 exec_lo, exec_lo, s22
	s_and_saveexec_b32 s22, s23
	s_xor_b32 s22, exec_lo, s22
	s_cbranch_execz .LBB4_537
; %bb.536:                              ;   in Loop: Header=BB4_495 Depth=2
	ds_write_b32 v0, v81
	s_trap 2
.LBB4_537:                              ;   in Loop: Header=BB4_495 Depth=2
	s_or_b32 exec_lo, exec_lo, s19
	;;#ASMSTART
	s_wakeup
	;;#ASMEND
.LBB4_538:                              ;   in Loop: Header=BB4_495 Depth=2
	s_or_b32 exec_lo, exec_lo, s18
.LBB4_539:                              ;   in Loop: Header=BB4_495 Depth=2
	s_andn2_saveexec_b32 s17, s17
	s_cbranch_execz .LBB4_541
; %bb.540:                              ;   in Loop: Header=BB4_495 Depth=2
	s_waitcnt vmcnt(0) lgkmcnt(0)
	s_waitcnt_vscnt null, 0x0
	buffer_gl1_inv
	buffer_gl0_inv
	s_barrier
.LBB4_541:                              ;   in Loop: Header=BB4_495 Depth=2
	s_or_b32 exec_lo, exec_lo, s17
.LBB4_542:                              ;   in Loop: Header=BB4_495 Depth=2
	s_or_b32 exec_lo, exec_lo, s16
	s_trap 2
	ds_read_b32 v8, v0
	v_and_b32_e32 v9, 0x4000, v69
	s_xor_b32 s16, s5, -1
	v_cmp_ne_u32_e32 vcc_lo, 0, v9
	s_and_b32 s17, s16, vcc_lo
	s_and_saveexec_b32 s16, s17
	s_cbranch_execz .LBB4_561
; %bb.543:                              ;   in Loop: Header=BB4_495 Depth=2
	s_and_saveexec_b32 s17, s29
	s_xor_b32 s17, exec_lo, s17
	s_cbranch_execz .LBB4_558
; %bb.544:                              ;   in Loop: Header=BB4_495 Depth=2
	s_and_saveexec_b32 s18, s11
	s_cbranch_execz .LBB4_557
; %bb.545:                              ;   in Loop: Header=BB4_495 Depth=2
	s_mov_b32 s22, exec_lo
	s_mov_b32 s19, exec_lo
	v_mbcnt_lo_u32_b32 v9, s22, 0
	s_waitcnt vmcnt(0) lgkmcnt(0)
	s_waitcnt_vscnt null, 0x0
	buffer_gl1_inv
	buffer_gl0_inv
	v_cmpx_eq_u32_e32 0, v9
	s_cbranch_execz .LBB4_547
; %bb.546:                              ;   in Loop: Header=BB4_495 Depth=2
	s_bcnt1_i32_b32 s22, s22
	v_mov_b32_e32 v10, v2
	v_mov_b32_e32 v9, s22
	ds_add_u64 v0, v[9:10]
	s_trap 2
.LBB4_547:                              ;   in Loop: Header=BB4_495 Depth=2
	s_or_b32 exec_lo, exec_lo, s19
	s_trap 2
	ds_read_b64 v[9:10], v0
	s_waitcnt lgkmcnt(0)
	buffer_gl0_inv
	v_add_co_u32 v12, vcc_lo, v12, v71
	v_add_co_ci_u32_e64 v13, null, 0, v13, vcc_lo
	s_mov_b32 s19, exec_lo
	v_cmpx_lt_u64_e64 v[9:10], v[12:13]
	s_cbranch_execz .LBB4_556
; %bb.548:                              ;   in Loop: Header=BB4_495 Depth=2
	s_mov_b32 s22, 0
	s_mov_b32 s73, 0
                                        ; implicit-def: $sgpr23
                                        ; implicit-def: $sgpr72
	s_inst_prefetch 0x1
	s_branch .LBB4_550
	.p2align	6
.LBB4_549:                              ;   in Loop: Header=BB4_550 Depth=3
	s_or_b32 exec_lo, exec_lo, s75
	s_and_b32 s74, exec_lo, s76
	s_or_b32 s22, s74, s22
	s_andn2_b32 s23, s23, exec_lo
	s_and_b32 s74, s72, exec_lo
	s_or_b32 s23, s23, s74
	s_andn2_b32 exec_lo, exec_lo, s22
	s_cbranch_execz .LBB4_554
.LBB4_550:                              ;   Parent Loop BB4_47 Depth=1
                                        ;     Parent Loop BB4_495 Depth=2
                                        ; =>    This Inner Loop Header: Depth=3
	s_add_i32 s73, s73, 1
	s_cmpk_lg_i32 s73, 0x2710
	s_cselect_b32 s74, -1, 0
	s_and_b32 vcc_lo, exec_lo, s74
	s_cbranch_vccz .LBB4_552
; %bb.551:                              ;   in Loop: Header=BB4_550 Depth=3
	s_mov_b32 s76, -1
	s_or_b32 s72, s72, exec_lo
	s_and_saveexec_b32 s75, s74
	s_cbranch_execz .LBB4_549
	s_branch .LBB4_553
	.p2align	6
.LBB4_552:                              ;   in Loop: Header=BB4_550 Depth=3
	s_trap 2
	ds_read_b64 v[9:10], v0
	s_andn2_b32 s74, s74, exec_lo
	s_mov_b32 s73, 0
	s_waitcnt lgkmcnt(0)
	flat_load_dword v9, v[9:10] glc dlc
	s_waitcnt vmcnt(0) lgkmcnt(0)
	buffer_gl1_inv
	buffer_gl0_inv
	v_cmp_eq_u32_e32 vcc_lo, 0, v9
	s_and_b32 s75, vcc_lo, exec_lo
	s_or_b32 s74, s74, s75
	s_mov_b32 s76, -1
	s_or_b32 s72, s72, exec_lo
	s_and_saveexec_b32 s75, s74
	s_cbranch_execz .LBB4_549
.LBB4_553:                              ;   in Loop: Header=BB4_550 Depth=3
	s_sleep 1
	s_trap 2
	ds_read_b64 v[9:10], v0
	s_waitcnt lgkmcnt(0)
	buffer_gl0_inv
	s_andn2_b32 s72, s72, exec_lo
	v_cmp_ge_u64_e32 vcc_lo, v[9:10], v[12:13]
	s_orn2_b32 s76, vcc_lo, exec_lo
	s_branch .LBB4_549
.LBB4_554:                              ;   in Loop: Header=BB4_495 Depth=2
	s_inst_prefetch 0x2
	s_or_b32 exec_lo, exec_lo, s22
	s_and_saveexec_b32 s22, s23
	s_xor_b32 s22, exec_lo, s22
	s_cbranch_execz .LBB4_556
; %bb.555:                              ;   in Loop: Header=BB4_495 Depth=2
	ds_write_b32 v0, v81
	s_trap 2
.LBB4_556:                              ;   in Loop: Header=BB4_495 Depth=2
	s_or_b32 exec_lo, exec_lo, s19
	;;#ASMSTART
	s_wakeup
	;;#ASMEND
.LBB4_557:                              ;   in Loop: Header=BB4_495 Depth=2
	s_or_b32 exec_lo, exec_lo, s18
.LBB4_558:                              ;   in Loop: Header=BB4_495 Depth=2
	s_andn2_saveexec_b32 s17, s17
	s_cbranch_execz .LBB4_560
; %bb.559:                              ;   in Loop: Header=BB4_495 Depth=2
	s_waitcnt vmcnt(0) lgkmcnt(0)
	s_waitcnt_vscnt null, 0x0
	buffer_gl1_inv
	buffer_gl0_inv
	s_barrier
.LBB4_560:                              ;   in Loop: Header=BB4_495 Depth=2
	s_or_b32 exec_lo, exec_lo, s17
.LBB4_561:                              ;   in Loop: Header=BB4_495 Depth=2
	s_or_b32 exec_lo, exec_lo, s16
	s_trap 2
	ds_read_b64 v[49:50], v0
	s_waitcnt lgkmcnt(0)
	v_cmp_eq_u64_e32 vcc_lo, 0, v[49:50]
	s_cbranch_vccnz .LBB4_570
; %bb.562:                              ;   in Loop: Header=BB4_495 Depth=2
	s_trap 2
	ds_read_b64 v[51:52], v0
	s_waitcnt lgkmcnt(0)
	v_cmp_eq_u64_e32 vcc_lo, 0, v[51:52]
	s_cbranch_vccnz .LBB4_570
; %bb.563:                              ;   in Loop: Header=BB4_495 Depth=2
	s_trap 2
	ds_read_b64 v[53:54], v0
	v_cmp_eq_u32_e64 s16, 0, v8
	v_cndmask_b32_e64 v42, 0, v48, s16
	s_mov_b32 s16, -1
	s_waitcnt lgkmcnt(0)
	v_cmp_ne_u64_e32 vcc_lo, 0, v[53:54]
	s_cbranch_vccz .LBB4_601
; %bb.564:                              ;   in Loop: Header=BB4_495 Depth=2
	s_and_saveexec_b32 s17, s15
	s_cbranch_execz .LBB4_566
; %bb.565:                              ;   in Loop: Header=BB4_495 Depth=2
	ds_read_b32 v8, v0 offset:720
	s_waitcnt lgkmcnt(0)
	v_and_b32_e32 v8, 15, v8
	v_cmp_eq_u32_e32 vcc_lo, 0, v8
	s_orn2_b32 s16, vcc_lo, exec_lo
.LBB4_566:                              ;   in Loop: Header=BB4_495 Depth=2
	s_or_b32 exec_lo, exec_lo, s17
	s_and_saveexec_b32 s17, s15
	s_cbranch_execz .LBB4_568
; %bb.567:                              ;   in Loop: Header=BB4_495 Depth=2
	ds_read_b32 v8, v0 offset:784
	s_waitcnt lgkmcnt(0)
	v_and_b32_e32 v8, 15, v8
	v_cmp_eq_u32_e32 vcc_lo, 0, v8
	s_and_b32 s18, s16, vcc_lo
	s_andn2_b32 s16, s16, exec_lo
	s_and_b32 s18, s18, exec_lo
	s_or_b32 s16, s16, s18
.LBB4_568:                              ;   in Loop: Header=BB4_495 Depth=2
	s_or_b32 exec_lo, exec_lo, s17
	s_xor_b32 s16, s16, -1
	v_mov_b32_e32 v66, 0
	v_cndmask_b32_e64 v8, 0, 1, s16
	v_mov_b32_e32 v67, v42
	v_mov_b32_e32 v44, v0
	s_mov_b32 s16, -1
	v_cmp_ne_u32_e32 vcc_lo, 0, v8
	v_mov_b32_e32 v8, v99
	s_cbranch_vccz .LBB4_575
; %bb.569:                              ;   in Loop: Header=BB4_495 Depth=2
	s_and_saveexec_b32 s22, s16
	s_cbranch_execnz .LBB4_590
	s_branch .LBB4_600
.LBB4_570:                              ;   in Loop: Header=BB4_495 Depth=2
	s_mov_b32 s16, 0
	s_and_saveexec_b32 s17, s6
	s_cbranch_execnz .LBB4_631
.LBB4_571:                              ;   in Loop: Header=BB4_495 Depth=2
	s_or_b32 exec_lo, exec_lo, s17
                                        ; implicit-def: $vgpr8
	s_and_saveexec_b32 s17, s13
	s_xor_b32 s17, exec_lo, s17
	s_cbranch_execz .LBB4_649
.LBB4_572:                              ;   in Loop: Header=BB4_495 Depth=2
	v_and_b32_e32 v8, 16, v69
	v_cmp_ne_u32_e32 vcc_lo, 0, v8
	v_and_b32_e32 v8, 16, v69
	s_and_b32 s18, vcc_lo, s16
	s_and_saveexec_b32 s16, s18
	s_cbranch_execz .LBB4_574
; %bb.573:                              ;   in Loop: Header=BB4_495 Depth=2
	v_mov_b32_e32 v8, 1
	s_waitcnt vmcnt(0) lgkmcnt(0)
	s_waitcnt_vscnt null, 0x0
	buffer_gl1_inv
	buffer_gl0_inv
.LBB4_574:                              ;   in Loop: Header=BB4_495 Depth=2
	s_or_b32 exec_lo, exec_lo, s16
	s_andn2_saveexec_b32 s16, s17
	s_cbranch_execz .LBB4_668
	s_branch .LBB4_650
.LBB4_575:                              ;   in Loop: Header=BB4_495 Depth=2
	v_ashrrev_i32_e32 v8, 31, v42
	s_mov_b32 s16, exec_lo
	v_lshrrev_b32_e32 v8, 22, v8
	v_add_nc_u32_e32 v8, v42, v8
	v_ashrrev_i32_e32 v44, 10, v8
	v_sub_nc_u32_e32 v43, v44, v99
	v_cmpx_lt_i32_e32 0, v43
	s_cbranch_execz .LBB4_579
; %bb.576:                              ;   in Loop: Header=BB4_495 Depth=2
	s_trap 2
	ds_read_b64 v[66:67], v0
	v_add_co_u32 v8, vcc_lo, v51, v115
	v_add_co_ci_u32_e64 v9, null, v52, v117, vcc_lo
	v_add_co_u32 v10, vcc_lo, v53, v115
	v_add_co_ci_u32_e64 v11, null, v54, v117, vcc_lo
	;; [unrolled: 2-line block ×3, first 2 shown]
	s_mov_b32 s17, 0
	s_waitcnt lgkmcnt(0)
	v_add_co_u32 v66, vcc_lo, v66, v115
	v_add_co_ci_u32_e64 v67, null, v67, v117, vcc_lo
.LBB4_577:                              ;   Parent Loop BB4_47 Depth=1
                                        ;     Parent Loop BB4_495 Depth=2
                                        ; =>    This Inner Loop Header: Depth=3
	s_clause 0x1
	global_load_dwordx4 v[56:59], v[64:65], off slc
	global_load_dwordx4 v[60:63], v[64:65], off offset:512 slc
	s_clause 0x1
	global_load_dwordx4 v[72:75], v[66:67], off slc
	global_load_dwordx4 v[76:79], v[66:67], off offset:512 slc
	v_add_co_u32 v64, vcc_lo, v64, v87
	v_add_co_ci_u32_e64 v65, null, 0, v65, vcc_lo
	v_add_co_u32 v66, vcc_lo, v66, v87
	v_sub_nc_u32_e32 v43, v43, v71
	v_add_co_ci_u32_e64 v67, null, 0, v67, vcc_lo
	s_waitcnt vmcnt(3)
	v_and_b32_e32 v47, 0xff00, v56
	v_lshlrev_b32_sdwa v45, v83, v56 dst_sel:DWORD dst_unused:UNUSED_PAD src0_sel:DWORD src1_sel:BYTE_3
	s_waitcnt vmcnt(1)
	v_lshrrev_b32_e32 v88, 8, v72
	v_mul_lo_u32 v46, v72, v56
	v_mul_u32_u24_sdwa v45, v72, v45 dst_sel:DWORD dst_unused:UNUSED_PAD src0_sel:BYTE_3 src1_sel:DWORD
	v_mul_u32_u24_e32 v47, v88, v47
	v_perm_b32 v46, v47, v46, 0xc0c0500
	v_mul_u32_u24_sdwa v47, v72, v56 dst_sel:DWORD dst_unused:UNUSED_PAD src0_sel:WORD_1 src1_sel:WORD_1
	v_lshrrev_b32_e32 v72, 8, v73
	v_perm_b32 v45, v45, v47, 0xc0c0500
	v_and_b32_e32 v47, 0xff00, v57
	v_lshl_or_b32 v56, v45, 16, v46
	v_mul_lo_u32 v46, v73, v57
	v_lshlrev_b32_sdwa v45, v83, v57 dst_sel:DWORD dst_unused:UNUSED_PAD src0_sel:DWORD src1_sel:BYTE_3
	v_mul_u32_u24_e32 v47, v72, v47
	v_lshrrev_b32_e32 v72, 8, v74
	v_mul_u32_u24_sdwa v45, v73, v45 dst_sel:DWORD dst_unused:UNUSED_PAD src0_sel:BYTE_3 src1_sel:DWORD
	v_perm_b32 v46, v47, v46, 0xc0c0500
	v_mul_u32_u24_sdwa v47, v73, v57 dst_sel:DWORD dst_unused:UNUSED_PAD src0_sel:WORD_1 src1_sel:WORD_1
	v_perm_b32 v45, v45, v47, 0xc0c0500
	v_and_b32_e32 v47, 0xff00, v58
	v_lshl_or_b32 v57, v45, 16, v46
	v_mul_lo_u32 v46, v74, v58
	v_lshlrev_b32_sdwa v45, v83, v58 dst_sel:DWORD dst_unused:UNUSED_PAD src0_sel:DWORD src1_sel:BYTE_3
	v_mul_u32_u24_e32 v47, v72, v47
	v_lshrrev_b32_e32 v72, 8, v75
	v_mul_u32_u24_sdwa v45, v74, v45 dst_sel:DWORD dst_unused:UNUSED_PAD src0_sel:BYTE_3 src1_sel:DWORD
	v_perm_b32 v46, v47, v46, 0xc0c0500
	v_mul_u32_u24_sdwa v47, v74, v58 dst_sel:DWORD dst_unused:UNUSED_PAD src0_sel:WORD_1 src1_sel:WORD_1
	v_perm_b32 v45, v45, v47, 0xc0c0500
	v_and_b32_e32 v47, 0xff00, v59
	v_lshl_or_b32 v58, v45, 16, v46
	v_mul_lo_u32 v46, v75, v59
	v_lshlrev_b32_sdwa v45, v83, v59 dst_sel:DWORD dst_unused:UNUSED_PAD src0_sel:DWORD src1_sel:BYTE_3
	v_mul_u32_u24_e32 v47, v72, v47
	s_waitcnt vmcnt(0)
	v_lshrrev_b32_e32 v72, 8, v76
	v_mul_u32_u24_sdwa v45, v75, v45 dst_sel:DWORD dst_unused:UNUSED_PAD src0_sel:BYTE_3 src1_sel:DWORD
	v_perm_b32 v46, v47, v46, 0xc0c0500
	v_mul_u32_u24_sdwa v47, v75, v59 dst_sel:DWORD dst_unused:UNUSED_PAD src0_sel:WORD_1 src1_sel:WORD_1
	v_perm_b32 v45, v45, v47, 0xc0c0500
	v_and_b32_e32 v47, 0xff00, v60
	v_lshl_or_b32 v59, v45, 16, v46
	v_mul_lo_u32 v46, v76, v60
	v_lshlrev_b32_sdwa v45, v83, v60 dst_sel:DWORD dst_unused:UNUSED_PAD src0_sel:DWORD src1_sel:BYTE_3
	v_mul_u32_u24_e32 v47, v72, v47
	v_lshrrev_b32_e32 v72, 8, v77
	v_mul_u32_u24_sdwa v45, v76, v45 dst_sel:DWORD dst_unused:UNUSED_PAD src0_sel:BYTE_3 src1_sel:DWORD
	v_perm_b32 v46, v47, v46, 0xc0c0500
	v_mul_u32_u24_sdwa v47, v76, v60 dst_sel:DWORD dst_unused:UNUSED_PAD src0_sel:WORD_1 src1_sel:WORD_1
	v_perm_b32 v45, v45, v47, 0xc0c0500
	v_and_b32_e32 v47, 0xff00, v61
	v_lshl_or_b32 v60, v45, 16, v46
	v_mul_lo_u32 v46, v77, v61
	v_lshlrev_b32_sdwa v45, v83, v61 dst_sel:DWORD dst_unused:UNUSED_PAD src0_sel:DWORD src1_sel:BYTE_3
	v_mul_u32_u24_e32 v47, v72, v47
	;; [unrolled: 10-line block ×4, first 2 shown]
	v_mul_u32_u24_sdwa v45, v79, v45 dst_sel:DWORD dst_unused:UNUSED_PAD src0_sel:BYTE_3 src1_sel:DWORD
	v_perm_b32 v46, v47, v46, 0xc0c0500
	v_mul_u32_u24_sdwa v47, v79, v63 dst_sel:DWORD dst_unused:UNUSED_PAD src0_sel:WORD_1 src1_sel:WORD_1
	v_perm_b32 v45, v45, v47, 0xc0c0500
	v_lshl_or_b32 v63, v45, 16, v46
	global_store_dwordx4 v[8:9], v[56:59], off glc slc
	global_store_dwordx4 v[8:9], v[60:63], off offset:512 glc slc
	global_store_dwordx4 v[10:11], v[56:59], off glc slc
	global_store_dwordx4 v[10:11], v[60:63], off offset:512 glc slc
	v_add_co_u32 v8, vcc_lo, v8, v87
	v_add_co_ci_u32_e64 v9, null, 0, v9, vcc_lo
	v_add_co_u32 v10, vcc_lo, v10, v87
	v_add_co_ci_u32_e64 v11, null, 0, v11, vcc_lo
	v_cmp_gt_i32_e32 vcc_lo, 1, v43
	s_or_b32 s17, vcc_lo, s17
	s_andn2_b32 exec_lo, exec_lo, s17
	s_cbranch_execnz .LBB4_577
; %bb.578:                              ;   in Loop: Header=BB4_495 Depth=2
	s_or_b32 exec_lo, exec_lo, s17
.LBB4_579:                              ;   in Loop: Header=BB4_495 Depth=2
	s_or_b32 exec_lo, exec_lo, s16
	v_lshlrev_b32_e32 v45, 10, v44
	v_mov_b32_e32 v66, 0
	s_mov_b32 s16, 0
	s_mov_b32 s19, exec_lo
                                        ; implicit-def: $vgpr67
                                        ; implicit-def: $vgpr44
                                        ; implicit-def: $vgpr8
	v_cmpx_ne_u32_e64 v42, v45
	s_cbranch_execz .LBB4_589
; %bb.580:                              ;   in Loop: Header=BB4_495 Depth=2
	v_lshlrev_b32_e32 v8, 5, v43
	v_sub_nc_u32_e32 v10, v42, v45
	s_mov_b32 s72, exec_lo
	v_sub_nc_u32_e32 v8, v101, v8
	v_ashrrev_i32_e32 v11, 31, v10
	v_ashrrev_i32_e32 v9, 31, v8
	v_lshrrev_b32_e32 v11, 23, v11
	v_lshrrev_b32_e32 v9, 27, v9
	v_add_nc_u32_e32 v11, v10, v11
	v_add_nc_u32_e32 v9, v8, v9
	v_and_b32_e32 v43, 0xfffffe00, v11
	v_ashrrev_i32_e32 v11, 9, v11
	v_and_b32_e32 v64, 0xffffffe0, v9
	v_sub_nc_u32_e32 v47, v10, v43
	v_ashrrev_i32_e32 v9, 5, v9
	v_sub_nc_u32_e32 v46, v8, v64
	v_cmp_lt_i32_e64 s16, 15, v47
	v_lshlrev_b32_e32 v8, 4, v46
	v_add_co_ci_u32_e64 v11, null, 0, v11, s16
	v_lshl_add_u32 v8, v9, 9, v8
	v_sub_nc_u32_e32 v56, v11, v9
	v_sub_nc_u32_e32 v44, v10, v8
	v_cmpx_lt_i32_e32 15, v44
	s_cbranch_execz .LBB4_586
; %bb.581:                              ;   in Loop: Header=BB4_495 Depth=2
	s_trap 2
	ds_read_b64 v[9:10], v0
	v_add_nc_u32_e32 v8, v8, v45
	s_mov_b32 s73, 0
	v_ashrrev_i32_e32 v11, 31, v8
	v_add_co_u32 v57, vcc_lo, v8, v51
	v_add_co_ci_u32_e64 v58, null, v11, v52, vcc_lo
	v_add_co_u32 v59, vcc_lo, v8, v53
	v_add_co_ci_u32_e64 v60, null, v11, v54, vcc_lo
	;; [unrolled: 2-line block ×3, first 2 shown]
	s_waitcnt lgkmcnt(0)
	v_add_co_u32 v66, vcc_lo, v9, v8
	v_add_co_ci_u32_e64 v67, null, v10, v11, vcc_lo
.LBB4_582:                              ;   Parent Loop BB4_47 Depth=1
                                        ;     Parent Loop BB4_495 Depth=2
                                        ; =>    This Loop Header: Depth=3
                                        ;         Child Loop BB4_583 Depth 4
	global_load_dwordx4 v[8:11], v[66:67], off slc
	global_load_dwordx4 v[72:75], v[64:65], off slc
	s_mov_b64 s[22:23], 0
	s_mov_b32 s74, -1
	s_waitcnt vmcnt(1)
	v_lshrrev_b32_e32 v61, 8, v8
	v_lshrrev_b32_e32 v62, 8, v9
	;; [unrolled: 1-line block ×4, first 2 shown]
	s_waitcnt vmcnt(0)
	v_lshlrev_b32_sdwa v77, v83, v72 dst_sel:DWORD dst_unused:UNUSED_PAD src0_sel:DWORD src1_sel:BYTE_3
	v_and_b32_e32 v79, 0xff00, v72
	v_lshlrev_b32_sdwa v88, v83, v73 dst_sel:DWORD dst_unused:UNUSED_PAD src0_sel:DWORD src1_sel:BYTE_3
	v_and_b32_e32 v90, 0xff00, v73
	;; [unrolled: 2-line block ×4, first 2 shown]
	v_mul_lo_u32 v78, v8, v72
	v_mul_lo_u32 v89, v9, v73
	;; [unrolled: 1-line block ×4, first 2 shown]
	v_mul_u32_u24_sdwa v72, v8, v72 dst_sel:DWORD dst_unused:UNUSED_PAD src0_sel:WORD_1 src1_sel:WORD_1
	v_mul_u32_u24_sdwa v73, v9, v73 dst_sel:DWORD dst_unused:UNUSED_PAD src0_sel:WORD_1 src1_sel:WORD_1
	;; [unrolled: 1-line block ×4, first 2 shown]
	v_mul_u32_u24_e32 v61, v61, v79
	v_mul_u32_u24_sdwa v8, v8, v77 dst_sel:DWORD dst_unused:UNUSED_PAD src0_sel:BYTE_3 src1_sel:DWORD
	v_mul_u32_u24_e32 v62, v62, v90
	v_mul_u32_u24_sdwa v9, v9, v88 dst_sel:DWORD dst_unused:UNUSED_PAD src0_sel:BYTE_3 src1_sel:DWORD
	;; [unrolled: 2-line block ×4, first 2 shown]
	v_perm_b32 v61, v61, v78, 0xc0c0500
	v_perm_b32 v8, v8, v72, 0xc0c0500
	;; [unrolled: 1-line block ×8, first 2 shown]
	v_lshl_or_b32 v8, v8, 16, v61
	v_lshl_or_b32 v9, v9, 16, v62
	;; [unrolled: 1-line block ×4, first 2 shown]
	.p2align	6
.LBB4_583:                              ;   Parent Loop BB4_47 Depth=1
                                        ;     Parent Loop BB4_495 Depth=2
                                        ;       Parent Loop BB4_582 Depth=3
                                        ; =>      This Inner Loop Header: Depth=4
	s_cmp_eq_u32 s22, 1
	s_cselect_b32 vcc_lo, -1, 0
	s_cmp_eq_u32 s22, 0
	v_cndmask_b32_e32 v61, v57, v59, vcc_lo
	v_cndmask_b32_e32 v62, v58, v60, vcc_lo
	s_mov_b64 s[22:23], 1
	v_add_co_u32 v63, s17, 0x200, v61
	v_add_co_ci_u32_e64 v72, null, 0, v62, s17
	s_cselect_b32 s17, -1, 0
	v_cndmask_b32_e32 v59, v59, v63, vcc_lo
	v_cndmask_b32_e64 v57, v57, v63, s17
	v_cndmask_b32_e32 v60, v60, v72, vcc_lo
	v_cndmask_b32_e64 v58, v58, v72, s17
	s_and_b32 s18, exec_lo, s74
	s_mov_b32 s74, 0
	s_mov_b32 vcc_lo, s18
	global_store_dwordx4 v[61:62], v[8:11], off glc slc
	s_cbranch_vccnz .LBB4_583
; %bb.584:                              ;   in Loop: Header=BB4_582 Depth=3
	v_add_co_u32 v64, vcc_lo, v64, v113
	v_sub_nc_u32_e32 v44, v44, v86
	v_add_co_ci_u32_e64 v65, null, v65, v114, vcc_lo
	v_add_co_u32 v66, vcc_lo, v66, v113
	v_add_co_ci_u32_e64 v67, null, v67, v114, vcc_lo
	v_add_co_u32 v57, vcc_lo, v57, v97
	v_add_co_ci_u32_e64 v58, null, v58, v100, vcc_lo
	v_cmp_gt_i32_e32 vcc_lo, 16, v44
	v_add_co_u32 v59, s17, v59, v97
	v_add_co_ci_u32_e64 v60, null, v60, v100, s17
	v_sub_nc_u32_e32 v56, v56, v71
	s_or_b32 s73, vcc_lo, s73
	s_andn2_b32 exec_lo, exec_lo, s73
	s_cbranch_execnz .LBB4_582
; %bb.585:                              ;   in Loop: Header=BB4_495 Depth=2
	s_or_b32 exec_lo, exec_lo, s73
.LBB4_586:                              ;   in Loop: Header=BB4_495 Depth=2
	s_or_b32 exec_lo, exec_lo, s72
	v_and_b32_e32 v9, 15, v42
	v_mov_b32_e32 v66, 0
	s_mov_b32 s17, 0
	s_mov_b32 s18, exec_lo
                                        ; implicit-def: $vgpr44
                                        ; implicit-def: $vgpr8
	v_cndmask_b32_e64 v67, v47, v9, s16
	v_cmpx_ne_u32_e32 0, v67
	s_cbranch_execz .LBB4_588
; %bb.587:                              ;   in Loop: Header=BB4_495 Depth=2
	v_cmp_lt_i32_e32 vcc_lo, 0, v56
	v_sub_nc_u32_e32 v9, v47, v9
	s_mov_b32 s17, exec_lo
	v_cndmask_b32_e32 v8, 0, v71, vcc_lo
	v_cndmask_b32_e64 v9, 0, v9, s16
	v_sub_nc_u32_e32 v8, v8, v56
	v_add3_u32 v66, v43, v45, v9
	v_lshl_add_u32 v44, v8, 5, v46
	v_ashrrev_i32_e32 v8, 31, v44
	v_lshrrev_b32_e32 v8, 27, v8
	v_add_nc_u32_e32 v8, v44, v8
	v_ashrrev_i32_e32 v8, 5, v8
.LBB4_588:                              ;   in Loop: Header=BB4_495 Depth=2
	s_or_b32 exec_lo, exec_lo, s18
	s_and_b32 s16, s17, exec_lo
.LBB4_589:                              ;   in Loop: Header=BB4_495 Depth=2
	s_or_b32 exec_lo, exec_lo, s19
	s_and_saveexec_b32 s22, s16
	s_cbranch_execz .LBB4_600
.LBB4_590:                              ;   in Loop: Header=BB4_495 Depth=2
	v_ashrrev_i32_e32 v9, 31, v67
	s_mov_b32 s17, exec_lo
	v_lshrrev_b32_e32 v9, 23, v9
	v_add_nc_u32_e32 v9, v67, v9
	v_ashrrev_i32_e32 v46, 9, v9
	v_ashrrev_i32_e32 v9, 31, v44
	v_sub_nc_u32_e32 v43, v46, v8
	v_lshrrev_b32_e32 v45, 27, v9
	v_cmpx_lt_i32_e32 0, v43
	s_cbranch_execz .LBB4_594
; %bb.591:                              ;   in Loop: Header=BB4_495 Depth=2
	v_add_nc_u32_e32 v9, v44, v45
	s_trap 2
	ds_read_b64 v[64:65], v0
	v_lshlrev_b32_e32 v8, 9, v8
	s_mov_b32 s18, 0
	v_and_b32_e32 v9, 0xffffffe0, v9
	v_sub_nc_u32_e32 v9, v44, v9
	v_add3_u32 v47, v66, v9, v8
	v_ashrrev_i32_e32 v56, 31, v47
	v_add_co_u32 v8, vcc_lo, v47, v51
	v_add_co_ci_u32_e64 v9, null, v56, v52, vcc_lo
	v_add_co_u32 v10, vcc_lo, v47, v53
	v_add_co_ci_u32_e64 v11, null, v56, v54, vcc_lo
	v_add_co_u32 v53, vcc_lo, v47, v49
	v_add_co_ci_u32_e64 v54, null, v56, v50, vcc_lo
	s_waitcnt lgkmcnt(0)
	v_add_co_u32 v64, vcc_lo, v64, v47
	v_add_co_ci_u32_e64 v65, null, v65, v56, vcc_lo
.LBB4_592:                              ;   Parent Loop BB4_47 Depth=1
                                        ;     Parent Loop BB4_495 Depth=2
                                        ; =>    This Inner Loop Header: Depth=3
	s_clause 0xf
	flat_load_ubyte v47, v[53:54] slc
	flat_load_ubyte v56, v[53:54] offset:32 slc
	flat_load_ubyte v57, v[53:54] offset:64 slc
	;; [unrolled: 1-line block ×15, first 2 shown]
	s_clause 0xf
	flat_load_ubyte v79, v[64:65] slc
	flat_load_ubyte v88, v[64:65] offset:32 slc
	flat_load_ubyte v89, v[64:65] offset:64 slc
	;; [unrolled: 1-line block ×15, first 2 shown]
	v_sub_nc_u32_e32 v43, v43, v71
	v_add_co_u32 v53, vcc_lo, v53, v86
	v_add_co_ci_u32_e64 v54, null, 0, v54, vcc_lo
	v_add_co_u32 v64, vcc_lo, v64, v86
	v_add_co_ci_u32_e64 v65, null, 0, v65, vcc_lo
	v_cmp_gt_i32_e32 vcc_lo, 1, v43
	s_or_b32 s18, vcc_lo, s18
	s_waitcnt vmcnt(15) lgkmcnt(15)
	v_mul_lo_u16 v47, v79, v47
	s_waitcnt vmcnt(14) lgkmcnt(14)
	v_mul_lo_u16 v56, v88, v56
	;; [unrolled: 2-line block ×16, first 2 shown]
	flat_store_byte v[8:9], v47 glc slc
	flat_store_byte v[8:9], v56 offset:32 glc slc
	flat_store_byte v[8:9], v57 offset:64 glc slc
	;; [unrolled: 1-line block ×15, first 2 shown]
	flat_store_byte v[10:11], v47 glc slc
	flat_store_byte v[10:11], v56 offset:32 glc slc
	flat_store_byte v[10:11], v57 offset:64 glc slc
	;; [unrolled: 1-line block ×15, first 2 shown]
	v_add_co_u32 v8, s16, v8, v86
	v_add_co_ci_u32_e64 v9, null, 0, v9, s16
	v_add_co_u32 v10, s16, v10, v86
	v_add_co_ci_u32_e64 v11, null, 0, v11, s16
	s_andn2_b32 exec_lo, exec_lo, s18
	s_cbranch_execnz .LBB4_592
; %bb.593:                              ;   in Loop: Header=BB4_495 Depth=2
	s_or_b32 exec_lo, exec_lo, s18
.LBB4_594:                              ;   in Loop: Header=BB4_495 Depth=2
	s_or_b32 exec_lo, exec_lo, s17
	v_lshlrev_b32_e32 v8, 9, v46
	v_cmp_ne_u32_e32 vcc_lo, v67, v8
	s_and_b32 exec_lo, exec_lo, vcc_lo
	s_cbranch_execz .LBB4_600
; %bb.595:                              ;   in Loop: Header=BB4_495 Depth=2
	v_add_nc_u32_e32 v9, v44, v45
	v_lshlrev_b32_e32 v10, 5, v43
	v_and_b32_e32 v9, 0xffffffe0, v9
	v_sub_nc_u32_e32 v9, v44, v9
	v_sub_nc_u32_e32 v9, v9, v10
	v_add_nc_u32_e32 v8, v8, v9
	v_sub_nc_u32_e32 v67, v67, v8
	v_cmp_lt_i32_e32 vcc_lo, 0, v67
	s_and_b32 exec_lo, exec_lo, vcc_lo
	s_cbranch_execz .LBB4_600
; %bb.596:                              ;   in Loop: Header=BB4_495 Depth=2
	s_trap 2
	ds_read_b128 v[43:46], v0
	v_add_nc_u32_e32 v10, v8, v66
	s_mov_b32 s23, 0
	v_ashrrev_i32_e32 v11, 31, v10
	s_waitcnt lgkmcnt(0)
	v_add_co_u32 v8, vcc_lo, v43, v10
	v_add_co_ci_u32_e64 v9, null, v44, v11, vcc_lo
	v_add_co_u32 v10, vcc_lo, v45, v10
	v_add_co_ci_u32_e64 v11, null, v46, v11, vcc_lo
	v_mov_b32_e32 v54, v9
	v_mov_b32_e32 v53, v8
	v_mov_b32_e32 v65, v11
	v_mov_b32_e32 v64, v10
.LBB4_597:                              ;   Parent Loop BB4_47 Depth=1
                                        ;     Parent Loop BB4_495 Depth=2
                                        ; =>    This Loop Header: Depth=3
                                        ;         Child Loop BB4_598 Depth 4
	flat_load_ubyte v66, v[53:54] slc
	flat_load_ubyte v43, v[64:65] slc
	s_mov_b64 s[18:19], 0
	s_mov_b32 s72, -1
	s_waitcnt vmcnt(0) lgkmcnt(0)
	v_mul_lo_u16 v66, v43, v66
	.p2align	6
.LBB4_598:                              ;   Parent Loop BB4_47 Depth=1
                                        ;     Parent Loop BB4_495 Depth=2
                                        ;       Parent Loop BB4_597 Depth=3
                                        ; =>      This Inner Loop Header: Depth=4
	s_cmp_eq_u32 s18, 1
	s_cselect_b32 vcc_lo, -1, 0
	s_cmp_eq_u32 s18, 0
	v_cndmask_b32_e32 v43, v8, v10, vcc_lo
	v_cndmask_b32_e32 v44, v9, v11, vcc_lo
	s_mov_b64 s[18:19], 1
	v_add_co_u32 v45, s16, v43, 32
	v_add_co_ci_u32_e64 v46, null, 0, v44, s16
	s_cselect_b32 s16, -1, 0
	v_cndmask_b32_e32 v10, v10, v45, vcc_lo
	v_cndmask_b32_e64 v8, v8, v45, s16
	v_cndmask_b32_e32 v11, v11, v46, vcc_lo
	v_cndmask_b32_e64 v9, v9, v46, s16
	s_and_b32 s17, exec_lo, s72
	s_mov_b32 s72, 0
	s_mov_b32 vcc_lo, s17
	flat_store_byte v[43:44], v66 glc slc
	s_cbranch_vccnz .LBB4_598
; %bb.599:                              ;   in Loop: Header=BB4_597 Depth=3
	v_add_co_u32 v53, vcc_lo, v53, v102
	v_sub_nc_u32_e32 v67, v67, v80
	v_add_co_ci_u32_e64 v54, null, v54, v103, vcc_lo
	v_add_co_u32 v64, vcc_lo, v64, v102
	v_add_co_ci_u32_e64 v65, null, v65, v103, vcc_lo
	v_add_co_u32 v8, vcc_lo, v8, v96
	v_add_co_ci_u32_e64 v9, null, v9, v98, vcc_lo
	v_cmp_gt_i32_e32 vcc_lo, 1, v67
	v_add_co_u32 v10, s16, v10, v96
	v_add_co_ci_u32_e64 v11, null, v11, v98, s16
	s_or_b32 s23, vcc_lo, s23
	s_andn2_b32 exec_lo, exec_lo, s23
	s_cbranch_execnz .LBB4_597
.LBB4_600:                              ;   in Loop: Header=BB4_495 Depth=2
	s_or_b32 exec_lo, exec_lo, s22
	s_mov_b32 s16, 0
.LBB4_601:                              ;   in Loop: Header=BB4_495 Depth=2
	s_and_b32 vcc_lo, exec_lo, s16
	s_cbranch_vccz .LBB4_630
; %bb.602:                              ;   in Loop: Header=BB4_495 Depth=2
	s_mov_b32 s16, -1
	s_and_saveexec_b32 s17, s15
	s_cbranch_execz .LBB4_604
; %bb.603:                              ;   in Loop: Header=BB4_495 Depth=2
	ds_read_b32 v8, v0 offset:720
	s_waitcnt lgkmcnt(0)
	v_and_b32_e32 v8, 15, v8
	v_cmp_eq_u32_e32 vcc_lo, 0, v8
	s_orn2_b32 s16, vcc_lo, exec_lo
.LBB4_604:                              ;   in Loop: Header=BB4_495 Depth=2
	s_or_b32 exec_lo, exec_lo, s17
	s_and_saveexec_b32 s17, s12
	s_cbranch_execz .LBB4_606
; %bb.605:                              ;   in Loop: Header=BB4_495 Depth=2
	ds_read_b32 v8, v0 offset:784
	s_waitcnt lgkmcnt(0)
	v_and_b32_e32 v8, 15, v8
	v_cmp_eq_u32_e32 vcc_lo, 0, v8
	s_and_b32 s18, s16, vcc_lo
	s_andn2_b32 s16, s16, exec_lo
	s_and_b32 s18, s18, exec_lo
	s_or_b32 s16, s16, s18
.LBB4_606:                              ;   in Loop: Header=BB4_495 Depth=2
	s_or_b32 exec_lo, exec_lo, s17
	s_xor_b32 s16, s16, -1
	v_mov_b32_e32 v53, 0
	v_cndmask_b32_e64 v8, 0, 1, s16
	v_mov_b32_e32 v54, v42
	v_mov_b32_e32 v64, v0
	s_mov_b32 s16, -1
	v_cmp_ne_u32_e32 vcc_lo, 0, v8
	v_mov_b32_e32 v8, v99
	s_cbranch_vccz .LBB4_608
; %bb.607:                              ;   in Loop: Header=BB4_495 Depth=2
	s_and_saveexec_b32 s17, s16
	s_cbranch_execnz .LBB4_621
	s_branch .LBB4_629
.LBB4_608:                              ;   in Loop: Header=BB4_495 Depth=2
	v_ashrrev_i32_e32 v8, 31, v42
	s_mov_b32 s16, exec_lo
	v_lshrrev_b32_e32 v8, 22, v8
	v_add_nc_u32_e32 v8, v42, v8
	v_ashrrev_i32_e32 v64, 10, v8
	v_sub_nc_u32_e32 v65, v64, v99
	v_cmpx_lt_i32_e32 0, v65
	s_cbranch_execz .LBB4_612
; %bb.609:                              ;   in Loop: Header=BB4_495 Depth=2
	s_trap 2
	ds_read_b64 v[10:11], v0
	v_add_co_u32 v8, vcc_lo, v49, v115
	v_add_co_ci_u32_e64 v9, null, v50, v117, vcc_lo
	s_mov_b32 s17, 0
	s_waitcnt lgkmcnt(0)
	v_add_co_u32 v10, vcc_lo, v10, v115
	v_add_co_ci_u32_e64 v11, null, v11, v117, vcc_lo
	v_add_co_u32 v53, vcc_lo, v51, v115
	v_add_co_ci_u32_e64 v54, null, v52, v117, vcc_lo
.LBB4_610:                              ;   Parent Loop BB4_47 Depth=1
                                        ;     Parent Loop BB4_495 Depth=2
                                        ; =>    This Inner Loop Header: Depth=3
	s_clause 0x1
	global_load_dwordx4 v[43:46], v[8:9], off slc
	global_load_dwordx4 v[56:59], v[8:9], off offset:512 slc
	s_clause 0x1
	global_load_dwordx4 v[60:63], v[10:11], off slc
	global_load_dwordx4 v[72:75], v[10:11], off offset:512 slc
	v_add_co_u32 v8, vcc_lo, v8, v87
	v_sub_nc_u32_e32 v65, v65, v71
	v_add_co_ci_u32_e64 v9, null, 0, v9, vcc_lo
	v_add_co_u32 v10, vcc_lo, v10, v87
	v_add_co_ci_u32_e64 v11, null, 0, v11, vcc_lo
	s_waitcnt vmcnt(3)
	v_lshlrev_b32_sdwa v66, v83, v43 dst_sel:DWORD dst_unused:UNUSED_PAD src0_sel:DWORD src1_sel:BYTE_3
	v_and_b32_e32 v47, 0xff00, v43
	s_waitcnt vmcnt(1)
	v_lshrrev_b32_e32 v76, 8, v60
	v_mul_lo_u32 v67, v60, v43
	v_mul_u32_u24_sdwa v43, v60, v43 dst_sel:DWORD dst_unused:UNUSED_PAD src0_sel:WORD_1 src1_sel:WORD_1
	v_mul_u32_u24_sdwa v66, v60, v66 dst_sel:DWORD dst_unused:UNUSED_PAD src0_sel:BYTE_3 src1_sel:DWORD
	v_lshrrev_b32_e32 v60, 8, v61
	v_mul_u32_u24_e32 v47, v76, v47
	v_perm_b32 v66, v66, v43, 0xc0c0500
	v_perm_b32 v67, v47, v67, 0xc0c0500
	v_and_b32_e32 v47, 0xff00, v44
	v_lshl_or_b32 v43, v66, 16, v67
	v_lshlrev_b32_sdwa v66, v83, v44 dst_sel:DWORD dst_unused:UNUSED_PAD src0_sel:DWORD src1_sel:BYTE_3
	v_mul_lo_u32 v67, v61, v44
	v_mul_u32_u24_e32 v47, v60, v47
	v_mul_u32_u24_sdwa v44, v61, v44 dst_sel:DWORD dst_unused:UNUSED_PAD src0_sel:WORD_1 src1_sel:WORD_1
	v_lshrrev_b32_e32 v60, 8, v62
	v_mul_u32_u24_sdwa v66, v61, v66 dst_sel:DWORD dst_unused:UNUSED_PAD src0_sel:BYTE_3 src1_sel:DWORD
	v_perm_b32 v67, v47, v67, 0xc0c0500
	v_perm_b32 v66, v66, v44, 0xc0c0500
	v_and_b32_e32 v47, 0xff00, v45
	v_lshl_or_b32 v44, v66, 16, v67
	v_lshlrev_b32_sdwa v66, v83, v45 dst_sel:DWORD dst_unused:UNUSED_PAD src0_sel:DWORD src1_sel:BYTE_3
	v_mul_lo_u32 v67, v62, v45
	v_mul_u32_u24_e32 v47, v60, v47
	v_mul_u32_u24_sdwa v45, v62, v45 dst_sel:DWORD dst_unused:UNUSED_PAD src0_sel:WORD_1 src1_sel:WORD_1
	v_lshrrev_b32_e32 v60, 8, v63
	v_mul_u32_u24_sdwa v66, v62, v66 dst_sel:DWORD dst_unused:UNUSED_PAD src0_sel:BYTE_3 src1_sel:DWORD
	v_perm_b32 v67, v47, v67, 0xc0c0500
	v_perm_b32 v66, v66, v45, 0xc0c0500
	v_and_b32_e32 v47, 0xff00, v46
	v_lshl_or_b32 v45, v66, 16, v67
	v_lshlrev_b32_sdwa v66, v83, v46 dst_sel:DWORD dst_unused:UNUSED_PAD src0_sel:DWORD src1_sel:BYTE_3
	v_mul_lo_u32 v67, v63, v46
	v_mul_u32_u24_e32 v47, v60, v47
	v_mul_u32_u24_sdwa v46, v63, v46 dst_sel:DWORD dst_unused:UNUSED_PAD src0_sel:WORD_1 src1_sel:WORD_1
	s_waitcnt vmcnt(0)
	v_lshrrev_b32_e32 v60, 8, v72
	v_mul_u32_u24_sdwa v66, v63, v66 dst_sel:DWORD dst_unused:UNUSED_PAD src0_sel:BYTE_3 src1_sel:DWORD
	v_perm_b32 v67, v47, v67, 0xc0c0500
	v_perm_b32 v66, v66, v46, 0xc0c0500
	v_and_b32_e32 v47, 0xff00, v56
	v_lshl_or_b32 v46, v66, 16, v67
	v_mul_lo_u32 v67, v72, v56
	v_lshlrev_b32_sdwa v66, v83, v56 dst_sel:DWORD dst_unused:UNUSED_PAD src0_sel:DWORD src1_sel:BYTE_3
	v_mul_u32_u24_e32 v47, v60, v47
	v_lshrrev_b32_e32 v60, 8, v73
	v_mul_u32_u24_sdwa v66, v72, v66 dst_sel:DWORD dst_unused:UNUSED_PAD src0_sel:BYTE_3 src1_sel:DWORD
	v_perm_b32 v67, v47, v67, 0xc0c0500
	v_mul_u32_u24_sdwa v47, v72, v56 dst_sel:DWORD dst_unused:UNUSED_PAD src0_sel:WORD_1 src1_sel:WORD_1
	v_perm_b32 v66, v66, v47, 0xc0c0500
	v_and_b32_e32 v47, 0xff00, v57
	v_lshl_or_b32 v56, v66, 16, v67
	v_mul_lo_u32 v67, v73, v57
	v_lshlrev_b32_sdwa v66, v83, v57 dst_sel:DWORD dst_unused:UNUSED_PAD src0_sel:DWORD src1_sel:BYTE_3
	v_mul_u32_u24_e32 v47, v60, v47
	v_lshrrev_b32_e32 v60, 8, v74
	v_mul_u32_u24_sdwa v66, v73, v66 dst_sel:DWORD dst_unused:UNUSED_PAD src0_sel:BYTE_3 src1_sel:DWORD
	v_perm_b32 v67, v47, v67, 0xc0c0500
	v_mul_u32_u24_sdwa v47, v73, v57 dst_sel:DWORD dst_unused:UNUSED_PAD src0_sel:WORD_1 src1_sel:WORD_1
	;; [unrolled: 10-line block ×3, first 2 shown]
	v_perm_b32 v66, v66, v47, 0xc0c0500
	v_and_b32_e32 v47, 0xff00, v59
	v_lshl_or_b32 v58, v66, 16, v67
	v_mul_lo_u32 v67, v75, v59
	v_lshlrev_b32_sdwa v66, v83, v59 dst_sel:DWORD dst_unused:UNUSED_PAD src0_sel:DWORD src1_sel:BYTE_3
	v_mul_u32_u24_e32 v47, v60, v47
	v_mul_u32_u24_sdwa v66, v75, v66 dst_sel:DWORD dst_unused:UNUSED_PAD src0_sel:BYTE_3 src1_sel:DWORD
	v_perm_b32 v67, v47, v67, 0xc0c0500
	v_mul_u32_u24_sdwa v47, v75, v59 dst_sel:DWORD dst_unused:UNUSED_PAD src0_sel:WORD_1 src1_sel:WORD_1
	v_perm_b32 v66, v66, v47, 0xc0c0500
	v_lshl_or_b32 v59, v66, 16, v67
	global_store_dwordx4 v[53:54], v[43:46], off glc slc
	global_store_dwordx4 v[53:54], v[56:59], off offset:512 glc slc
	v_add_co_u32 v53, vcc_lo, v53, v87
	v_add_co_ci_u32_e64 v54, null, 0, v54, vcc_lo
	v_cmp_gt_i32_e32 vcc_lo, 1, v65
	s_or_b32 s17, vcc_lo, s17
	s_andn2_b32 exec_lo, exec_lo, s17
	s_cbranch_execnz .LBB4_610
; %bb.611:                              ;   in Loop: Header=BB4_495 Depth=2
	s_or_b32 exec_lo, exec_lo, s17
.LBB4_612:                              ;   in Loop: Header=BB4_495 Depth=2
	s_or_b32 exec_lo, exec_lo, s16
	v_lshlrev_b32_e32 v66, 10, v64
	v_mov_b32_e32 v53, 0
	s_mov_b32 s16, 0
	s_mov_b32 s18, exec_lo
                                        ; implicit-def: $vgpr54
                                        ; implicit-def: $vgpr64
                                        ; implicit-def: $vgpr8
	v_cmpx_ne_u32_e64 v42, v66
	s_cbranch_execz .LBB4_620
; %bb.613:                              ;   in Loop: Header=BB4_495 Depth=2
	v_lshlrev_b32_e32 v8, 5, v65
	v_sub_nc_u32_e32 v10, v42, v66
	s_mov_b32 s19, exec_lo
	v_sub_nc_u32_e32 v8, v101, v8
	v_ashrrev_i32_e32 v11, 31, v10
	v_ashrrev_i32_e32 v9, 31, v8
	v_lshrrev_b32_e32 v11, 23, v11
	v_lshrrev_b32_e32 v9, 27, v9
	v_add_nc_u32_e32 v11, v10, v11
	v_add_nc_u32_e32 v9, v8, v9
	v_and_b32_e32 v65, 0xfffffe00, v11
	v_ashrrev_i32_e32 v11, 9, v11
	v_and_b32_e32 v53, 0xffffffe0, v9
	v_sub_nc_u32_e32 v43, v10, v65
	v_ashrrev_i32_e32 v9, 5, v9
	v_sub_nc_u32_e32 v67, v8, v53
	v_cmp_lt_i32_e32 vcc_lo, 15, v43
	v_lshlrev_b32_e32 v8, 4, v67
	v_add_co_ci_u32_e64 v11, null, 0, v11, vcc_lo
	v_lshl_add_u32 v8, v9, 9, v8
	v_sub_nc_u32_e32 v44, v11, v9
	v_sub_nc_u32_e32 v64, v10, v8
	v_cmpx_lt_i32_e32 15, v64
	s_cbranch_execz .LBB4_617
; %bb.614:                              ;   in Loop: Header=BB4_495 Depth=2
	s_trap 2
	ds_read_b64 v[10:11], v0
	v_add_nc_u32_e32 v53, v8, v66
	s_mov_b32 s22, 0
	v_ashrrev_i32_e32 v54, 31, v53
	v_add_co_u32 v8, s16, v53, v49
	v_add_co_ci_u32_e64 v9, null, v54, v50, s16
	s_waitcnt lgkmcnt(0)
	v_add_co_u32 v10, s16, v10, v53
	v_add_co_ci_u32_e64 v11, null, v11, v54, s16
	v_add_co_u32 v53, s16, v53, v51
	v_add_co_ci_u32_e64 v54, null, v54, v52, s16
.LBB4_615:                              ;   Parent Loop BB4_47 Depth=1
                                        ;     Parent Loop BB4_495 Depth=2
                                        ; =>    This Inner Loop Header: Depth=3
	global_load_dwordx4 v[56:59], v[10:11], off slc
	global_load_dwordx4 v[60:63], v[8:9], off slc
	v_sub_nc_u32_e32 v64, v64, v86
	v_add_co_u32 v8, s16, v8, v86
	v_add_co_ci_u32_e64 v9, null, 0, v9, s16
	v_add_co_u32 v10, s16, v10, v86
	v_add_co_ci_u32_e64 v11, null, 0, v11, s16
	v_cmp_gt_i32_e64 s16, 16, v64
	v_sub_nc_u32_e32 v44, v44, v71
	s_or_b32 s22, s16, s22
	s_waitcnt vmcnt(1)
	v_lshrrev_b32_e32 v45, 8, v56
	v_lshrrev_b32_e32 v46, 8, v57
	;; [unrolled: 1-line block ×4, first 2 shown]
	s_waitcnt vmcnt(0)
	v_lshlrev_b32_sdwa v73, v83, v60 dst_sel:DWORD dst_unused:UNUSED_PAD src0_sel:DWORD src1_sel:BYTE_3
	v_and_b32_e32 v75, 0xff00, v60
	v_lshlrev_b32_sdwa v76, v83, v61 dst_sel:DWORD dst_unused:UNUSED_PAD src0_sel:DWORD src1_sel:BYTE_3
	v_and_b32_e32 v78, 0xff00, v61
	;; [unrolled: 2-line block ×4, first 2 shown]
	v_mul_lo_u32 v74, v56, v60
	v_mul_lo_u32 v77, v57, v61
	;; [unrolled: 1-line block ×4, first 2 shown]
	v_mul_u32_u24_sdwa v60, v56, v60 dst_sel:DWORD dst_unused:UNUSED_PAD src0_sel:WORD_1 src1_sel:WORD_1
	v_mul_u32_u24_sdwa v61, v57, v61 dst_sel:DWORD dst_unused:UNUSED_PAD src0_sel:WORD_1 src1_sel:WORD_1
	;; [unrolled: 1-line block ×4, first 2 shown]
	v_mul_u32_u24_e32 v45, v45, v75
	v_mul_u32_u24_sdwa v56, v56, v73 dst_sel:DWORD dst_unused:UNUSED_PAD src0_sel:BYTE_3 src1_sel:DWORD
	v_mul_u32_u24_e32 v46, v46, v78
	v_mul_u32_u24_sdwa v57, v57, v76 dst_sel:DWORD dst_unused:UNUSED_PAD src0_sel:BYTE_3 src1_sel:DWORD
	;; [unrolled: 2-line block ×4, first 2 shown]
	v_perm_b32 v45, v45, v74, 0xc0c0500
	v_perm_b32 v56, v56, v60, 0xc0c0500
	;; [unrolled: 1-line block ×8, first 2 shown]
	v_lshl_or_b32 v56, v56, 16, v45
	v_lshl_or_b32 v57, v57, 16, v46
	;; [unrolled: 1-line block ×4, first 2 shown]
	global_store_dwordx4 v[53:54], v[56:59], off glc slc
	v_add_co_u32 v53, s17, v53, v86
	v_add_co_ci_u32_e64 v54, null, 0, v54, s17
	s_andn2_b32 exec_lo, exec_lo, s22
	s_cbranch_execnz .LBB4_615
; %bb.616:                              ;   in Loop: Header=BB4_495 Depth=2
	s_or_b32 exec_lo, exec_lo, s22
.LBB4_617:                              ;   in Loop: Header=BB4_495 Depth=2
	s_or_b32 exec_lo, exec_lo, s19
	v_and_b32_e32 v9, 15, v42
	v_mov_b32_e32 v53, 0
	s_mov_b32 s17, 0
	s_mov_b32 s19, exec_lo
                                        ; implicit-def: $vgpr64
                                        ; implicit-def: $vgpr8
	v_cndmask_b32_e32 v54, v43, v9, vcc_lo
	v_cmpx_ne_u32_e32 0, v54
	s_cbranch_execz .LBB4_619
; %bb.618:                              ;   in Loop: Header=BB4_495 Depth=2
	v_cmp_lt_i32_e64 s16, 0, v44
	v_sub_nc_u32_e32 v9, v43, v9
	s_mov_b32 s17, exec_lo
	v_cndmask_b32_e64 v8, 0, v71, s16
	v_cndmask_b32_e32 v9, 0, v9, vcc_lo
	v_sub_nc_u32_e32 v8, v8, v44
	v_add3_u32 v53, v65, v66, v9
	v_lshl_add_u32 v64, v8, 5, v67
	v_ashrrev_i32_e32 v8, 31, v64
	v_lshrrev_b32_e32 v8, 27, v8
	v_add_nc_u32_e32 v8, v64, v8
	v_ashrrev_i32_e32 v8, 5, v8
.LBB4_619:                              ;   in Loop: Header=BB4_495 Depth=2
	s_or_b32 exec_lo, exec_lo, s19
	s_and_b32 s16, s17, exec_lo
.LBB4_620:                              ;   in Loop: Header=BB4_495 Depth=2
	s_or_b32 exec_lo, exec_lo, s18
	s_and_saveexec_b32 s17, s16
	s_cbranch_execz .LBB4_629
.LBB4_621:                              ;   in Loop: Header=BB4_495 Depth=2
	v_ashrrev_i32_e32 v9, 31, v54
	s_mov_b32 s16, exec_lo
	v_lshrrev_b32_e32 v9, 23, v9
	v_add_nc_u32_e32 v9, v54, v9
	v_ashrrev_i32_e32 v66, 9, v9
	v_sub_nc_u32_e32 v65, v66, v8
	v_cmpx_lt_i32_e32 0, v65
	s_cbranch_execz .LBB4_625
; %bb.622:                              ;   in Loop: Header=BB4_495 Depth=2
	v_ashrrev_i32_e32 v9, 31, v64
	s_trap 2
	ds_read_b64 v[10:11], v0
	v_lshlrev_b32_e32 v8, 9, v8
	v_add_co_u32 v51, vcc_lo, 0x1e0, v51
	v_lshrrev_b32_e32 v9, 27, v9
	v_add_co_ci_u32_e64 v52, null, 0, v52, vcc_lo
	s_mov_b32 s18, 0
	v_add_nc_u32_e32 v9, v64, v9
	v_and_b32_e32 v9, 0xffffffe0, v9
	v_sub_nc_u32_e32 v9, v64, v9
	v_add3_u32 v67, v53, v9, v8
	v_ashrrev_i32_e32 v43, 31, v67
	v_add_co_u32 v8, vcc_lo, v67, v49
	v_add_co_ci_u32_e64 v9, null, v43, v50, vcc_lo
	s_waitcnt lgkmcnt(0)
	v_add_co_u32 v10, vcc_lo, v10, v67
	v_add_co_ci_u32_e64 v11, null, v11, v43, vcc_lo
	v_add_co_u32 v49, vcc_lo, v51, v67
	v_add_co_ci_u32_e64 v50, null, v52, v43, vcc_lo
.LBB4_623:                              ;   Parent Loop BB4_47 Depth=1
                                        ;     Parent Loop BB4_495 Depth=2
                                        ; =>    This Inner Loop Header: Depth=3
	s_clause 0xf
	flat_load_ubyte v51, v[8:9] slc
	flat_load_ubyte v52, v[8:9] offset:32 slc
	flat_load_ubyte v67, v[8:9] offset:64 slc
	;; [unrolled: 1-line block ×15, first 2 shown]
	s_clause 0xf
	flat_load_ubyte v72, v[10:11] slc
	flat_load_ubyte v73, v[10:11] offset:32 slc
	flat_load_ubyte v74, v[10:11] offset:64 slc
	;; [unrolled: 1-line block ×15, first 2 shown]
	v_sub_nc_u32_e32 v65, v65, v71
	s_waitcnt vmcnt(15) lgkmcnt(15)
	v_mul_lo_u16 v72, v72, v51
	v_add_co_u32 v51, vcc_lo, 0xfffffe20, v49
	s_waitcnt vmcnt(14) lgkmcnt(14)
	v_mul_lo_u16 v73, v73, v52
	v_add_co_ci_u32_e64 v52, null, -1, v50, vcc_lo
	s_waitcnt vmcnt(13) lgkmcnt(13)
	v_mul_lo_u16 v67, v74, v67
	s_waitcnt vmcnt(12) lgkmcnt(12)
	v_mul_lo_u16 v43, v75, v43
	s_waitcnt vmcnt(11) lgkmcnt(11)
	v_mul_lo_u16 v44, v76, v44
	flat_store_byte v[51:52], v72 glc slc
	v_add_co_u32 v51, vcc_lo, 0xfffffe40, v49
	v_add_co_ci_u32_e64 v52, null, -1, v50, vcc_lo
	s_waitcnt vmcnt(10) lgkmcnt(11)
	v_mul_lo_u16 v45, v77, v45
	s_waitcnt vmcnt(9) lgkmcnt(10)
	v_mul_lo_u16 v46, v78, v46
	s_waitcnt vmcnt(8) lgkmcnt(9)
	v_mul_lo_u16 v47, v79, v47
	flat_store_byte v[51:52], v73 glc slc
	v_add_co_u32 v51, vcc_lo, 0xfffffe60, v49
	;; [unrolled: 9-line block ×4, first 2 shown]
	v_add_co_ci_u32_e64 v52, null, -1, v50, vcc_lo
	s_waitcnt vmcnt(1) lgkmcnt(5)
	v_mul_lo_u16 v62, v94, v62
	s_waitcnt vmcnt(0) lgkmcnt(4)
	v_mul_lo_u16 v63, v95, v63
	flat_store_byte v[51:52], v44 glc slc
	v_add_co_u32 v51, vcc_lo, 0xfffffec0, v49
	v_add_co_ci_u32_e64 v52, null, -1, v50, vcc_lo
	flat_store_byte v[51:52], v45 glc slc
	v_add_co_u32 v51, vcc_lo, 0xfffffee0, v49
	v_add_co_ci_u32_e64 v52, null, -1, v50, vcc_lo
	;; [unrolled: 3-line block ×10, first 2 shown]
	v_add_co_u32 v8, vcc_lo, v8, v86
	v_add_co_ci_u32_e64 v9, null, 0, v9, vcc_lo
	v_add_co_u32 v10, vcc_lo, v10, v86
	flat_store_byte v[51:52], v62 glc slc
	flat_store_byte v[49:50], v63 glc slc
	v_add_co_ci_u32_e64 v11, null, 0, v11, vcc_lo
	v_add_co_u32 v49, vcc_lo, v49, v86
	v_add_co_ci_u32_e64 v50, null, 0, v50, vcc_lo
	v_cmp_gt_i32_e32 vcc_lo, 1, v65
	s_or_b32 s18, vcc_lo, s18
	s_andn2_b32 exec_lo, exec_lo, s18
	s_cbranch_execnz .LBB4_623
; %bb.624:                              ;   in Loop: Header=BB4_495 Depth=2
	s_or_b32 exec_lo, exec_lo, s18
.LBB4_625:                              ;   in Loop: Header=BB4_495 Depth=2
	s_or_b32 exec_lo, exec_lo, s16
	v_lshlrev_b32_e32 v8, 9, v66
	v_cmp_ne_u32_e32 vcc_lo, v54, v8
	s_and_b32 exec_lo, exec_lo, vcc_lo
	s_cbranch_execz .LBB4_629
; %bb.626:                              ;   in Loop: Header=BB4_495 Depth=2
	v_ashrrev_i32_e32 v9, 31, v64
	v_lshlrev_b32_e32 v10, 5, v65
	v_lshrrev_b32_e32 v9, 27, v9
	v_add_nc_u32_e32 v9, v64, v9
	v_and_b32_e32 v9, 0xffffffe0, v9
	v_sub_nc_u32_e32 v9, v64, v9
	v_sub_nc_u32_e32 v9, v9, v10
	v_add_nc_u32_e32 v8, v8, v9
	v_sub_nc_u32_e32 v51, v54, v8
	v_cmp_lt_i32_e32 vcc_lo, 0, v51
	s_and_b32 exec_lo, exec_lo, vcc_lo
	s_cbranch_execz .LBB4_629
; %bb.627:                              ;   in Loop: Header=BB4_495 Depth=2
	s_trap 2
	ds_read_b128 v[64:67], v0
	ds_read_b64 v[49:50], v0
	v_add_nc_u32_e32 v52, v8, v53
	s_mov_b32 s18, 0
	v_ashrrev_i32_e32 v53, 31, v52
	s_waitcnt lgkmcnt(1)
	v_add_co_u32 v8, vcc_lo, v64, v52
	v_add_co_ci_u32_e64 v9, null, v65, v53, vcc_lo
	v_add_co_u32 v10, vcc_lo, v66, v52
	v_add_co_ci_u32_e64 v11, null, v67, v53, vcc_lo
	s_waitcnt lgkmcnt(0)
	v_add_co_u32 v49, vcc_lo, v49, v52
	v_add_co_ci_u32_e64 v50, null, v50, v53, vcc_lo
	.p2align	6
.LBB4_628:                              ;   Parent Loop BB4_47 Depth=1
                                        ;     Parent Loop BB4_495 Depth=2
                                        ; =>    This Inner Loop Header: Depth=3
	flat_load_ubyte v52, v[8:9] slc
	flat_load_ubyte v53, v[10:11] slc
	v_sub_nc_u32_e32 v51, v51, v80
	v_add_co_u32 v8, vcc_lo, v8, v80
	v_add_co_ci_u32_e64 v9, null, 0, v9, vcc_lo
	v_add_co_u32 v10, vcc_lo, v10, v80
	v_add_co_ci_u32_e64 v11, null, 0, v11, vcc_lo
	v_cmp_gt_i32_e32 vcc_lo, 1, v51
	s_or_b32 s18, vcc_lo, s18
	s_waitcnt vmcnt(0) lgkmcnt(0)
	v_mul_lo_u16 v52, v53, v52
	flat_store_byte v[49:50], v52 glc slc
	v_add_co_u32 v49, s16, v49, v80
	v_add_co_ci_u32_e64 v50, null, 0, v50, s16
	s_andn2_b32 exec_lo, exec_lo, s18
	s_cbranch_execnz .LBB4_628
.LBB4_629:                              ;   in Loop: Header=BB4_495 Depth=2
	s_or_b32 exec_lo, exec_lo, s17
.LBB4_630:                              ;   in Loop: Header=BB4_495 Depth=2
	v_cmp_lt_i32_e64 s16, 0, v42
	s_and_saveexec_b32 s17, s6
	s_cbranch_execz .LBB4_571
.LBB4_631:                              ;   in Loop: Header=BB4_495 Depth=2
	s_and_saveexec_b32 s18, s29
	s_xor_b32 s18, exec_lo, s18
	s_cbranch_execz .LBB4_646
; %bb.632:                              ;   in Loop: Header=BB4_495 Depth=2
	s_and_saveexec_b32 s19, s11
	s_cbranch_execz .LBB4_645
; %bb.633:                              ;   in Loop: Header=BB4_495 Depth=2
	s_mov_b32 s23, exec_lo
	s_mov_b32 s22, exec_lo
	v_mbcnt_lo_u32_b32 v8, s23, 0
	s_waitcnt vmcnt(0) lgkmcnt(0)
	s_waitcnt_vscnt null, 0x0
	buffer_gl1_inv
	buffer_gl0_inv
	v_cmpx_eq_u32_e32 0, v8
	s_cbranch_execz .LBB4_635
; %bb.634:                              ;   in Loop: Header=BB4_495 Depth=2
	s_bcnt1_i32_b32 s23, s23
	v_mov_b32_e32 v9, v2
	v_mov_b32_e32 v8, s23
	ds_add_u64 v0, v[8:9]
	s_trap 2
.LBB4_635:                              ;   in Loop: Header=BB4_495 Depth=2
	s_or_b32 exec_lo, exec_lo, s22
	s_trap 2
	ds_read_b64 v[8:9], v0
	s_waitcnt lgkmcnt(0)
	buffer_gl0_inv
	v_add_co_u32 v12, vcc_lo, v12, v71
	v_add_co_ci_u32_e64 v13, null, 0, v13, vcc_lo
	s_mov_b32 s22, exec_lo
	v_cmpx_lt_u64_e64 v[8:9], v[12:13]
	s_cbranch_execz .LBB4_644
; %bb.636:                              ;   in Loop: Header=BB4_495 Depth=2
	s_mov_b32 s23, 0
	s_mov_b32 s74, 0
                                        ; implicit-def: $sgpr72
                                        ; implicit-def: $sgpr73
	s_inst_prefetch 0x1
	s_branch .LBB4_638
	.p2align	6
.LBB4_637:                              ;   in Loop: Header=BB4_638 Depth=3
	s_or_b32 exec_lo, exec_lo, s76
	s_and_b32 s75, exec_lo, s77
	s_or_b32 s23, s75, s23
	s_andn2_b32 s72, s72, exec_lo
	s_and_b32 s75, s73, exec_lo
	s_or_b32 s72, s72, s75
	s_andn2_b32 exec_lo, exec_lo, s23
	s_cbranch_execz .LBB4_642
.LBB4_638:                              ;   Parent Loop BB4_47 Depth=1
                                        ;     Parent Loop BB4_495 Depth=2
                                        ; =>    This Inner Loop Header: Depth=3
	s_add_i32 s74, s74, 1
	s_cmpk_lg_i32 s74, 0x2710
	s_cselect_b32 s75, -1, 0
	s_and_b32 vcc_lo, exec_lo, s75
	s_cbranch_vccz .LBB4_640
; %bb.639:                              ;   in Loop: Header=BB4_638 Depth=3
	s_mov_b32 s77, -1
	s_or_b32 s73, s73, exec_lo
	s_and_saveexec_b32 s76, s75
	s_cbranch_execz .LBB4_637
	s_branch .LBB4_641
	.p2align	6
.LBB4_640:                              ;   in Loop: Header=BB4_638 Depth=3
	s_trap 2
	ds_read_b64 v[8:9], v0
	s_andn2_b32 s75, s75, exec_lo
	s_mov_b32 s74, 0
	s_waitcnt lgkmcnt(0)
	flat_load_dword v8, v[8:9] glc dlc
	s_waitcnt vmcnt(0) lgkmcnt(0)
	buffer_gl1_inv
	buffer_gl0_inv
	v_cmp_eq_u32_e32 vcc_lo, 0, v8
	s_and_b32 s76, vcc_lo, exec_lo
	s_or_b32 s75, s75, s76
	s_mov_b32 s77, -1
	s_or_b32 s73, s73, exec_lo
	s_and_saveexec_b32 s76, s75
	s_cbranch_execz .LBB4_637
.LBB4_641:                              ;   in Loop: Header=BB4_638 Depth=3
	s_sleep 1
	s_trap 2
	ds_read_b64 v[8:9], v0
	s_waitcnt lgkmcnt(0)
	buffer_gl0_inv
	s_andn2_b32 s73, s73, exec_lo
	v_cmp_ge_u64_e32 vcc_lo, v[8:9], v[12:13]
	s_orn2_b32 s77, vcc_lo, exec_lo
	s_branch .LBB4_637
.LBB4_642:                              ;   in Loop: Header=BB4_495 Depth=2
	s_inst_prefetch 0x2
	s_or_b32 exec_lo, exec_lo, s23
	s_and_saveexec_b32 s23, s72
	s_xor_b32 s23, exec_lo, s23
	s_cbranch_execz .LBB4_644
; %bb.643:                              ;   in Loop: Header=BB4_495 Depth=2
	ds_write_b32 v0, v81
	s_trap 2
.LBB4_644:                              ;   in Loop: Header=BB4_495 Depth=2
	s_or_b32 exec_lo, exec_lo, s22
	;;#ASMSTART
	s_wakeup
	;;#ASMEND
.LBB4_645:                              ;   in Loop: Header=BB4_495 Depth=2
	s_or_b32 exec_lo, exec_lo, s19
.LBB4_646:                              ;   in Loop: Header=BB4_495 Depth=2
	s_andn2_saveexec_b32 s18, s18
	s_cbranch_execz .LBB4_648
; %bb.647:                              ;   in Loop: Header=BB4_495 Depth=2
	s_waitcnt vmcnt(0) lgkmcnt(0)
	s_waitcnt_vscnt null, 0x0
	buffer_gl1_inv
	buffer_gl0_inv
	s_barrier
.LBB4_648:                              ;   in Loop: Header=BB4_495 Depth=2
	s_or_b32 exec_lo, exec_lo, s18
	s_or_b32 exec_lo, exec_lo, s17
                                        ; implicit-def: $vgpr8
	s_and_saveexec_b32 s17, s13
	s_xor_b32 s17, exec_lo, s17
	s_cbranch_execnz .LBB4_572
.LBB4_649:                              ;   in Loop: Header=BB4_495 Depth=2
	s_andn2_saveexec_b32 s16, s17
	s_cbranch_execz .LBB4_668
.LBB4_650:                              ;   in Loop: Header=BB4_495 Depth=2
	s_and_saveexec_b32 s17, s29
	s_xor_b32 s17, exec_lo, s17
	s_cbranch_execz .LBB4_665
; %bb.651:                              ;   in Loop: Header=BB4_495 Depth=2
	s_and_saveexec_b32 s18, s11
	s_cbranch_execz .LBB4_664
; %bb.652:                              ;   in Loop: Header=BB4_495 Depth=2
	s_mov_b32 s22, exec_lo
	s_mov_b32 s19, exec_lo
	v_mbcnt_lo_u32_b32 v8, s22, 0
	;;#ASMSTART
	s_waitcnt lgkmcnt(0) vmcnt(0)
	;;#ASMEND
	v_cmpx_eq_u32_e32 0, v8
	s_cbranch_execz .LBB4_654
; %bb.653:                              ;   in Loop: Header=BB4_495 Depth=2
	s_bcnt1_i32_b32 s22, s22
	v_mov_b32_e32 v9, v2
	v_mov_b32_e32 v8, s22
	s_waitcnt vmcnt(0) lgkmcnt(0)
	s_waitcnt_vscnt null, 0x0
	ds_add_u64 v0, v[8:9]
	s_trap 2
.LBB4_654:                              ;   in Loop: Header=BB4_495 Depth=2
	s_or_b32 exec_lo, exec_lo, s19
	s_trap 2
	ds_read_b64 v[8:9], v0
	s_waitcnt vmcnt(0) lgkmcnt(0)
	buffer_gl0_inv
	v_add_co_u32 v12, vcc_lo, v12, v71
	v_add_co_ci_u32_e64 v13, null, 0, v13, vcc_lo
	s_mov_b32 s19, exec_lo
	v_cmpx_lt_u64_e64 v[8:9], v[12:13]
	s_cbranch_execz .LBB4_663
; %bb.655:                              ;   in Loop: Header=BB4_495 Depth=2
	s_mov_b32 s22, 0
	s_mov_b32 s73, 0
                                        ; implicit-def: $sgpr23
                                        ; implicit-def: $sgpr72
	s_inst_prefetch 0x1
	s_branch .LBB4_657
	.p2align	6
.LBB4_656:                              ;   in Loop: Header=BB4_657 Depth=3
	s_or_b32 exec_lo, exec_lo, s75
	s_and_b32 s74, exec_lo, s76
	s_or_b32 s22, s74, s22
	s_andn2_b32 s23, s23, exec_lo
	s_and_b32 s74, s72, exec_lo
	s_or_b32 s23, s23, s74
	s_andn2_b32 exec_lo, exec_lo, s22
	s_cbranch_execz .LBB4_661
.LBB4_657:                              ;   Parent Loop BB4_47 Depth=1
                                        ;     Parent Loop BB4_495 Depth=2
                                        ; =>    This Inner Loop Header: Depth=3
	s_add_i32 s73, s73, 1
	s_cmpk_lg_i32 s73, 0x2710
	s_cselect_b32 s74, -1, 0
	s_and_b32 vcc_lo, exec_lo, s74
	s_cbranch_vccz .LBB4_659
; %bb.658:                              ;   in Loop: Header=BB4_657 Depth=3
	s_mov_b32 s76, -1
	s_or_b32 s72, s72, exec_lo
	s_and_saveexec_b32 s75, s74
	s_cbranch_execz .LBB4_656
	s_branch .LBB4_660
	.p2align	6
.LBB4_659:                              ;   in Loop: Header=BB4_657 Depth=3
	s_trap 2
	ds_read_b64 v[8:9], v0
	s_andn2_b32 s74, s74, exec_lo
	s_mov_b32 s73, 0
	s_waitcnt lgkmcnt(0)
	s_waitcnt_vscnt null, 0x0
	flat_load_dword v8, v[8:9] glc dlc
	s_waitcnt vmcnt(0) lgkmcnt(0)
	buffer_gl1_inv
	buffer_gl0_inv
	v_cmp_eq_u32_e32 vcc_lo, 0, v8
	s_and_b32 s75, vcc_lo, exec_lo
	s_or_b32 s74, s74, s75
	s_mov_b32 s76, -1
	s_or_b32 s72, s72, exec_lo
	s_and_saveexec_b32 s75, s74
	s_cbranch_execz .LBB4_656
.LBB4_660:                              ;   in Loop: Header=BB4_657 Depth=3
	s_sleep 1
	s_trap 2
	ds_read_b64 v[8:9], v0
	s_waitcnt lgkmcnt(0)
	buffer_gl0_inv
	s_andn2_b32 s72, s72, exec_lo
	v_cmp_ge_u64_e32 vcc_lo, v[8:9], v[12:13]
	s_orn2_b32 s76, vcc_lo, exec_lo
	s_branch .LBB4_656
.LBB4_661:                              ;   in Loop: Header=BB4_495 Depth=2
	s_inst_prefetch 0x2
	s_or_b32 exec_lo, exec_lo, s22
	s_and_saveexec_b32 s22, s23
	s_xor_b32 s22, exec_lo, s22
	s_cbranch_execz .LBB4_663
; %bb.662:                              ;   in Loop: Header=BB4_495 Depth=2
	ds_write_b32 v0, v81
	s_trap 2
.LBB4_663:                              ;   in Loop: Header=BB4_495 Depth=2
	s_or_b32 exec_lo, exec_lo, s19
	;;#ASMSTART
	s_wakeup
	;;#ASMEND
.LBB4_664:                              ;   in Loop: Header=BB4_495 Depth=2
	s_or_b32 exec_lo, exec_lo, s18
.LBB4_665:                              ;   in Loop: Header=BB4_495 Depth=2
	s_andn2_saveexec_b32 s17, s17
	s_cbranch_execz .LBB4_667
; %bb.666:                              ;   in Loop: Header=BB4_495 Depth=2
	;;#ASMSTART
	s_waitcnt lgkmcnt(0) vmcnt(0)
	;;#ASMEND
	s_barrier
.LBB4_667:                              ;   in Loop: Header=BB4_495 Depth=2
	s_or_b32 exec_lo, exec_lo, s17
	v_and_b32_e32 v8, 16, v69
.LBB4_668:                              ;   in Loop: Header=BB4_495 Depth=2
	s_or_b32 exec_lo, exec_lo, s16
	v_cmp_ne_u32_e32 vcc_lo, 0, v8
	s_xor_b32 s16, s7, -1
	s_and_b32 s17, vcc_lo, s16
	s_and_saveexec_b32 s16, s17
	s_cbranch_execz .LBB4_670
; %bb.669:                              ;   in Loop: Header=BB4_495 Depth=2
	s_waitcnt vmcnt(0) lgkmcnt(0)
	s_waitcnt_vscnt null, 0x0
	flat_store_dword v[24:25], v81
.LBB4_670:                              ;   in Loop: Header=BB4_495 Depth=2
	s_or_b32 exec_lo, exec_lo, s16
	v_and_b32_e32 v8, 48, v69
	s_mov_b32 s16, exec_lo
	v_cmpx_ne_u32_e32 0, v8
	s_cbranch_execz .LBB4_494
; %bb.671:                              ;   in Loop: Header=BB4_495 Depth=2
	v_add_co_u32 v36, vcc_lo, v36, 2
	v_add_co_ci_u32_e64 v37, null, 0, v37, vcc_lo
	s_waitcnt vmcnt(0) lgkmcnt(0)
	s_waitcnt_vscnt null, 0x0
	flat_store_dwordx2 v[20:21], v[36:37]
	s_branch .LBB4_494
.LBB4_672:                              ;   in Loop: Header=BB4_47 Depth=1
	s_or_b32 exec_lo, exec_lo, s61
.LBB4_673:                              ;   in Loop: Header=BB4_47 Depth=1
	s_or_b32 exec_lo, exec_lo, s21
	s_mov_b32 s17, exec_lo
	v_cmpx_gt_i32_e32 2, v10
	s_cbranch_execz .LBB4_749
; %bb.674:                              ;   in Loop: Header=BB4_47 Depth=1
	v_cmp_eq_u32_e64 s19, 0, v10
	s_mov_b32 s18, 0
	s_branch .LBB4_676
.LBB4_675:                              ;   in Loop: Header=BB4_676 Depth=2
	s_or_b32 exec_lo, exec_lo, s16
	v_add_nc_u32_e32 v55, v48, v55
	s_mov_b32 s19, 0
	s_andn2_b32 exec_lo, exec_lo, s18
	s_cbranch_execz .LBB4_748
.LBB4_676:                              ;   Parent Loop BB4_47 Depth=1
                                        ; =>  This Loop Header: Depth=2
                                        ;       Child Loop BB4_682 Depth 3
                                        ;       Child Loop BB4_710 Depth 3
	;; [unrolled: 1-line block ×3, first 2 shown]
	v_sub_nc_u32_e32 v8, v3, v55
	v_and_b32_e32 v9, 12, v69
	s_mov_b32 s21, exec_lo
	v_min_i32_e32 v48, v48, v8
	v_cmpx_ne_u32_e32 0, v9
	s_cbranch_execz .LBB4_702
; %bb.677:                              ;   in Loop: Header=BB4_676 Depth=2
	v_and_b32_e32 v51, 8, v69
	s_mov_b32 s22, exec_lo
	s_waitcnt vmcnt(0) lgkmcnt(1)
	v_add_co_u32 v10, vcc_lo, v26, v51
	v_add_co_ci_u32_e64 v11, null, 0, v27, vcc_lo
	v_add_co_u32 v8, vcc_lo, v36, 2
	v_add_co_ci_u32_e64 v9, null, 0, v37, vcc_lo
	v_cmpx_lt_u64_e64 v[10:11], v[8:9]
	s_cbranch_execz .LBB4_689
; %bb.678:                              ;   in Loop: Header=BB4_676 Depth=2
	v_and_b32_e32 v10, 64, v69
	s_mov_b32 s23, 0
	s_mov_b32 s72, 0
                                        ; implicit-def: $sgpr61
                                        ; implicit-def: $sgpr62
                                        ; implicit-def: $sgpr63
	v_cmp_eq_u32_e32 vcc_lo, 0, v10
	s_branch .LBB4_682
.LBB4_679:                              ;   in Loop: Header=BB4_682 Depth=3
	s_waitcnt vmcnt(0) lgkmcnt(0)
	v_add_co_u32 v49, s16, v26, v51
	v_add_co_ci_u32_e64 v50, null, 0, v27, s16
	s_or_b32 s75, s75, exec_lo
	v_cmp_ge_u64_e64 s16, v[49:50], v[8:9]
	s_orn2_b32 s74, s16, exec_lo
.LBB4_680:                              ;   in Loop: Header=BB4_682 Depth=3
	s_or_b32 exec_lo, exec_lo, s77
	s_andn2_b32 s16, s63, exec_lo
	s_and_b32 s63, s75, exec_lo
	s_andn2_b32 s62, s62, exec_lo
	s_and_b32 s74, s74, exec_lo
	s_or_b32 s63, s16, s63
	s_or_b32 s62, s62, s74
.LBB4_681:                              ;   in Loop: Header=BB4_682 Depth=3
	s_or_b32 exec_lo, exec_lo, s73
	s_and_b32 s16, exec_lo, s62
	s_or_b32 s23, s16, s23
	s_andn2_b32 s16, s61, exec_lo
	s_and_b32 s61, s63, exec_lo
	s_or_b32 s61, s16, s61
	s_andn2_b32 exec_lo, exec_lo, s23
	s_cbranch_execz .LBB4_686
.LBB4_682:                              ;   Parent Loop BB4_47 Depth=1
                                        ;     Parent Loop BB4_676 Depth=2
                                        ; =>    This Inner Loop Header: Depth=3
	s_sleep 1
	s_waitcnt vmcnt(0) lgkmcnt(0)
	flat_load_dwordx2 v[26:27], v[20:21] glc dlc
	s_or_b32 s63, s63, exec_lo
	s_or_b32 s62, s62, exec_lo
                                        ; implicit-def: $vgpr10
	s_and_saveexec_b32 s73, vcc_lo
	s_cbranch_execz .LBB4_681
; %bb.683:                              ;   in Loop: Header=BB4_682 Depth=3
	s_cmpk_lt_i32 s72, 0x270f
	s_mov_b32 s74, -1
	s_cselect_b32 s76, -1, 0
	s_cmpk_gt_i32 s72, 0x270e
	s_cbranch_scc0 .LBB4_685
; %bb.684:                              ;   in Loop: Header=BB4_682 Depth=3
	s_trap 2
	ds_read_b64 v[10:11], v0
	s_andn2_b32 s72, s76, exec_lo
	s_mov_b32 s75, 0
	s_waitcnt vmcnt(0) lgkmcnt(0)
	s_waitcnt_vscnt null, 0x0
	flat_load_dword v10, v[10:11] glc dlc
	s_waitcnt vmcnt(0) lgkmcnt(0)
	buffer_gl1_inv
	buffer_gl0_inv
	v_cmp_eq_u32_e64 s16, 0, v10
	s_and_b32 s16, s16, exec_lo
	s_or_b32 s76, s72, s16
	s_mov_b32 s72, 0
	s_and_saveexec_b32 s77, s76
	s_cbranch_execz .LBB4_680
	s_branch .LBB4_679
.LBB4_685:                              ;   in Loop: Header=BB4_682 Depth=3
	s_add_i32 s72, s72, 1
	s_mov_b32 s75, -1
                                        ; implicit-def: $vgpr10
	s_and_saveexec_b32 s77, s76
	s_cbranch_execz .LBB4_680
	s_branch .LBB4_679
.LBB4_686:                              ;   in Loop: Header=BB4_676 Depth=2
	s_or_b32 exec_lo, exec_lo, s23
	s_xor_b32 s16, s61, -1
	s_and_saveexec_b32 s23, s16
	s_xor_b32 s16, exec_lo, s23
	s_cbranch_execz .LBB4_688
; %bb.687:                              ;   in Loop: Header=BB4_676 Depth=2
	v_or_b32_e32 v69, 64, v69
	s_waitcnt vmcnt(0) lgkmcnt(0)
	s_waitcnt_vscnt null, 0x0
	ds_write_b32 v0, v10
	s_trap 2
.LBB4_688:                              ;   in Loop: Header=BB4_676 Depth=2
	s_or_b32 exec_lo, exec_lo, s16
.LBB4_689:                              ;   in Loop: Header=BB4_676 Depth=2
	s_or_b32 exec_lo, exec_lo, s22
	v_and_b32_e32 v10, 0x108, v69
	;;#ASMSTART
	s_wakeup
	;;#ASMEND
	v_cmp_ne_u32_e32 vcc_lo, 0x108, v10
                                        ; implicit-def: $vgpr10_vgpr11
	s_and_saveexec_b32 s16, vcc_lo
	s_xor_b32 s16, exec_lo, s16
; %bb.690:                              ;   in Loop: Header=BB4_676 Depth=2
	v_and_b32_e32 v10, 7, v36
	v_mov_b32_e32 v11, v2
                                        ; implicit-def: $vgpr36_vgpr37
; %bb.691:                              ;   in Loop: Header=BB4_676 Depth=2
	s_andn2_saveexec_b32 s16, s16
	s_cbranch_execz .LBB4_693
; %bb.692:                              ;   in Loop: Header=BB4_676 Depth=2
	v_and_b32_e32 v10, 7, v36
	v_ashrrev_i32_e32 v49, 31, v48
	v_mov_b32_e32 v11, v2
	v_mad_u64_u32 v[36:37], null, v10, 24, v[6:7]
	flat_store_dwordx2 v[36:37], v[48:49] offset:8
.LBB4_693:                              ;   in Loop: Header=BB4_676 Depth=2
	s_or_b32 exec_lo, exec_lo, s16
	v_and_b32_e32 v36, 0x100, v69
	s_mov_b32 s16, -1
	v_cmp_ne_u32_e32 vcc_lo, 0, v36
                                        ; implicit-def: $vgpr36_vgpr37
	s_and_saveexec_b32 s22, vcc_lo
	s_cbranch_execz .LBB4_697
; %bb.694:                              ;   in Loop: Header=BB4_676 Depth=2
	v_mad_u64_u32 v[49:50], null, v10, 24, v[6:7]
	v_mov_b32_e32 v36, v50
	v_mad_u64_u32 v[36:37], null, v11, 24, v[36:37]
	v_mov_b32_e32 v50, v36
	flat_load_dword v36, v[49:50]
	s_waitcnt vmcnt(0) lgkmcnt(0)
	v_cmp_eq_u32_e64 s16, 1, v36
	v_cmp_ne_u32_e32 vcc_lo, 1, v36
                                        ; implicit-def: $vgpr36_vgpr37
	s_and_saveexec_b32 s23, s16
	s_cbranch_execz .LBB4_696
; %bb.695:                              ;   in Loop: Header=BB4_676 Depth=2
	flat_load_dword v36, v[49:50] offset:4 glc dlc
	s_waitcnt vmcnt(0) lgkmcnt(0)
	v_ashrrev_i32_e32 v37, 31, v36
.LBB4_696:                              ;   in Loop: Header=BB4_676 Depth=2
	s_or_b32 exec_lo, exec_lo, s23
	s_orn2_b32 s16, vcc_lo, exec_lo
.LBB4_697:                              ;   in Loop: Header=BB4_676 Depth=2
	s_or_b32 exec_lo, exec_lo, s22
	s_and_saveexec_b32 s22, s16
; %bb.698:                              ;   in Loop: Header=BB4_676 Depth=2
	v_mul_lo_u32 v11, v11, v70
	v_mul_lo_u32 v49, v10, v30
	v_mad_u64_u32 v[36:37], null, v10, v70, 0
	v_add3_u32 v37, v37, v49, v11
; %bb.699:                              ;   in Loop: Header=BB4_676 Depth=2
	s_or_b32 exec_lo, exec_lo, s22
	v_cmp_eq_u32_e32 vcc_lo, 0, v51
	v_and_b32_e32 v50, 0x2000, v69
	s_mov_b32 s16, exec_lo
	v_cndmask_b32_e32 v49, 0xd0, v82, vcc_lo
	v_add_co_u32 v10, vcc_lo, v22, v36
	v_add_co_ci_u32_e64 v11, null, v23, v37, vcc_lo
	v_add_nc_u32_e32 v36, v0, v49
	ds_write_b64 v36, v[10:11] offset:584
	v_cmpx_ne_u32_e32 0, v50
	s_cbranch_execz .LBB4_701
; %bb.700:                              ;   in Loop: Header=BB4_676 Depth=2
	ds_read_b64 v[10:11], v0 offset:872
	s_waitcnt lgkmcnt(0)
	v_add_co_u32 v10, vcc_lo, v10, 1
	v_add_co_ci_u32_e64 v11, null, 0, v11, vcc_lo
	ds_write_b64 v0, v[10:11] offset:872
.LBB4_701:                              ;   in Loop: Header=BB4_676 Depth=2
	s_or_b32 exec_lo, exec_lo, s16
	v_mov_b32_e32 v37, v9
	v_mov_b32_e32 v36, v8
.LBB4_702:                              ;   in Loop: Header=BB4_676 Depth=2
	s_or_b32 exec_lo, exec_lo, s21
	s_xor_b32 s16, s19, -1
	s_and_b32 s16, exec_lo, s16
	s_or_b32 s18, s16, s18
	s_and_saveexec_b32 s16, s6
	s_cbranch_execz .LBB4_721
; %bb.703:                              ;   in Loop: Header=BB4_676 Depth=2
	s_and_saveexec_b32 s19, s29
	s_xor_b32 s19, exec_lo, s19
	s_cbranch_execz .LBB4_718
; %bb.704:                              ;   in Loop: Header=BB4_676 Depth=2
	s_and_saveexec_b32 s21, s11
	s_cbranch_execz .LBB4_717
; %bb.705:                              ;   in Loop: Header=BB4_676 Depth=2
	s_mov_b32 s23, exec_lo
	s_mov_b32 s22, exec_lo
	v_mbcnt_lo_u32_b32 v8, s23, 0
	s_waitcnt vmcnt(0) lgkmcnt(0)
	s_waitcnt_vscnt null, 0x0
	buffer_gl1_inv
	buffer_gl0_inv
	v_cmpx_eq_u32_e32 0, v8
	s_cbranch_execz .LBB4_707
; %bb.706:                              ;   in Loop: Header=BB4_676 Depth=2
	s_bcnt1_i32_b32 s23, s23
	v_mov_b32_e32 v9, v2
	v_mov_b32_e32 v8, s23
	ds_add_u64 v0, v[8:9]
	s_trap 2
.LBB4_707:                              ;   in Loop: Header=BB4_676 Depth=2
	s_or_b32 exec_lo, exec_lo, s22
	s_trap 2
	ds_read_b64 v[8:9], v0
	s_waitcnt lgkmcnt(0)
	buffer_gl0_inv
	v_add_co_u32 v12, vcc_lo, v12, v71
	v_add_co_ci_u32_e64 v13, null, 0, v13, vcc_lo
	s_mov_b32 s22, exec_lo
	v_cmpx_lt_u64_e64 v[8:9], v[12:13]
	s_cbranch_execz .LBB4_716
; %bb.708:                              ;   in Loop: Header=BB4_676 Depth=2
	s_mov_b32 s23, 0
	s_mov_b32 s63, 0
                                        ; implicit-def: $sgpr61
                                        ; implicit-def: $sgpr62
	s_inst_prefetch 0x1
	s_branch .LBB4_710
	.p2align	6
.LBB4_709:                              ;   in Loop: Header=BB4_710 Depth=3
	s_or_b32 exec_lo, exec_lo, s73
	s_and_b32 s72, exec_lo, s74
	s_or_b32 s23, s72, s23
	s_andn2_b32 s61, s61, exec_lo
	s_and_b32 s72, s62, exec_lo
	s_or_b32 s61, s61, s72
	s_andn2_b32 exec_lo, exec_lo, s23
	s_cbranch_execz .LBB4_714
.LBB4_710:                              ;   Parent Loop BB4_47 Depth=1
                                        ;     Parent Loop BB4_676 Depth=2
                                        ; =>    This Inner Loop Header: Depth=3
	s_add_i32 s63, s63, 1
	s_cmpk_lg_i32 s63, 0x2710
	s_cselect_b32 s72, -1, 0
	s_and_b32 vcc_lo, exec_lo, s72
	s_cbranch_vccz .LBB4_712
; %bb.711:                              ;   in Loop: Header=BB4_710 Depth=3
	s_mov_b32 s74, -1
	s_or_b32 s62, s62, exec_lo
	s_and_saveexec_b32 s73, s72
	s_cbranch_execz .LBB4_709
	s_branch .LBB4_713
	.p2align	6
.LBB4_712:                              ;   in Loop: Header=BB4_710 Depth=3
	s_trap 2
	ds_read_b64 v[8:9], v0
	s_andn2_b32 s72, s72, exec_lo
	s_mov_b32 s63, 0
	s_waitcnt lgkmcnt(0)
	flat_load_dword v8, v[8:9] glc dlc
	s_waitcnt vmcnt(0) lgkmcnt(0)
	buffer_gl1_inv
	buffer_gl0_inv
	v_cmp_eq_u32_e32 vcc_lo, 0, v8
	s_and_b32 s73, vcc_lo, exec_lo
	s_or_b32 s72, s72, s73
	s_mov_b32 s74, -1
	s_or_b32 s62, s62, exec_lo
	s_and_saveexec_b32 s73, s72
	s_cbranch_execz .LBB4_709
.LBB4_713:                              ;   in Loop: Header=BB4_710 Depth=3
	s_sleep 1
	s_trap 2
	ds_read_b64 v[8:9], v0
	s_waitcnt lgkmcnt(0)
	buffer_gl0_inv
	s_andn2_b32 s62, s62, exec_lo
	v_cmp_ge_u64_e32 vcc_lo, v[8:9], v[12:13]
	s_orn2_b32 s74, vcc_lo, exec_lo
	s_branch .LBB4_709
.LBB4_714:                              ;   in Loop: Header=BB4_676 Depth=2
	s_inst_prefetch 0x2
	s_or_b32 exec_lo, exec_lo, s23
	s_and_saveexec_b32 s23, s61
	s_xor_b32 s23, exec_lo, s23
	s_cbranch_execz .LBB4_716
; %bb.715:                              ;   in Loop: Header=BB4_676 Depth=2
	ds_write_b32 v0, v81
	s_trap 2
.LBB4_716:                              ;   in Loop: Header=BB4_676 Depth=2
	s_or_b32 exec_lo, exec_lo, s22
	;;#ASMSTART
	s_wakeup
	;;#ASMEND
.LBB4_717:                              ;   in Loop: Header=BB4_676 Depth=2
	s_or_b32 exec_lo, exec_lo, s21
.LBB4_718:                              ;   in Loop: Header=BB4_676 Depth=2
	s_andn2_saveexec_b32 s19, s19
	s_cbranch_execz .LBB4_720
; %bb.719:                              ;   in Loop: Header=BB4_676 Depth=2
	s_waitcnt vmcnt(0) lgkmcnt(0)
	s_waitcnt_vscnt null, 0x0
	buffer_gl1_inv
	buffer_gl0_inv
	s_barrier
.LBB4_720:                              ;   in Loop: Header=BB4_676 Depth=2
	s_or_b32 exec_lo, exec_lo, s19
.LBB4_721:                              ;   in Loop: Header=BB4_676 Depth=2
	s_or_b32 exec_lo, exec_lo, s16
                                        ; implicit-def: $vgpr8
	s_and_saveexec_b32 s16, s13
	s_xor_b32 s19, exec_lo, s16
	s_cbranch_execz .LBB4_725
; %bb.722:                              ;   in Loop: Header=BB4_676 Depth=2
	s_trap 2
	ds_read_b32 v8, v0
	v_cmp_lt_i32_e32 vcc_lo, 0, v48
	s_waitcnt lgkmcnt(0)
	v_readfirstlane_b32 s16, v8
	v_and_b32_e32 v8, 16, v69
	s_cmp_eq_u32 s16, 0
	v_cmp_ne_u32_e64 s16, 0, v8
	s_cselect_b32 s21, -1, 0
	v_and_b32_e32 v8, 16, v69
	s_and_b32 s21, vcc_lo, s21
	s_and_b32 s21, s16, s21
	s_and_saveexec_b32 s16, s21
	s_cbranch_execz .LBB4_724
; %bb.723:                              ;   in Loop: Header=BB4_676 Depth=2
	v_mov_b32_e32 v8, 1
	s_waitcnt vmcnt(0)
	s_waitcnt_vscnt null, 0x0
	buffer_gl1_inv
	buffer_gl0_inv
.LBB4_724:                              ;   in Loop: Header=BB4_676 Depth=2
	s_or_b32 exec_lo, exec_lo, s16
	s_andn2_saveexec_b32 s16, s19
	s_cbranch_execz .LBB4_744
	s_branch .LBB4_726
.LBB4_725:                              ;   in Loop: Header=BB4_676 Depth=2
	s_andn2_saveexec_b32 s16, s19
	s_cbranch_execz .LBB4_744
.LBB4_726:                              ;   in Loop: Header=BB4_676 Depth=2
	s_and_saveexec_b32 s19, s29
	s_xor_b32 s19, exec_lo, s19
	s_cbranch_execz .LBB4_741
; %bb.727:                              ;   in Loop: Header=BB4_676 Depth=2
	s_and_saveexec_b32 s21, s11
	s_cbranch_execz .LBB4_740
; %bb.728:                              ;   in Loop: Header=BB4_676 Depth=2
	s_mov_b32 s23, exec_lo
	s_mov_b32 s22, exec_lo
	v_mbcnt_lo_u32_b32 v8, s23, 0
	;;#ASMSTART
	s_waitcnt lgkmcnt(0) vmcnt(0)
	;;#ASMEND
	v_cmpx_eq_u32_e32 0, v8
	s_cbranch_execz .LBB4_730
; %bb.729:                              ;   in Loop: Header=BB4_676 Depth=2
	s_bcnt1_i32_b32 s23, s23
	v_mov_b32_e32 v9, v2
	v_mov_b32_e32 v8, s23
	s_waitcnt vmcnt(0) lgkmcnt(0)
	s_waitcnt_vscnt null, 0x0
	ds_add_u64 v0, v[8:9]
	s_trap 2
.LBB4_730:                              ;   in Loop: Header=BB4_676 Depth=2
	s_or_b32 exec_lo, exec_lo, s22
	s_trap 2
	ds_read_b64 v[8:9], v0
	s_waitcnt vmcnt(0) lgkmcnt(0)
	buffer_gl0_inv
	v_add_co_u32 v12, vcc_lo, v12, v71
	v_add_co_ci_u32_e64 v13, null, 0, v13, vcc_lo
	s_mov_b32 s22, exec_lo
	v_cmpx_lt_u64_e64 v[8:9], v[12:13]
	s_cbranch_execz .LBB4_739
; %bb.731:                              ;   in Loop: Header=BB4_676 Depth=2
	s_mov_b32 s23, 0
	s_mov_b32 s63, 0
                                        ; implicit-def: $sgpr61
                                        ; implicit-def: $sgpr62
	s_inst_prefetch 0x1
	s_branch .LBB4_733
	.p2align	6
.LBB4_732:                              ;   in Loop: Header=BB4_733 Depth=3
	s_or_b32 exec_lo, exec_lo, s73
	s_and_b32 s72, exec_lo, s74
	s_or_b32 s23, s72, s23
	s_andn2_b32 s61, s61, exec_lo
	s_and_b32 s72, s62, exec_lo
	s_or_b32 s61, s61, s72
	s_andn2_b32 exec_lo, exec_lo, s23
	s_cbranch_execz .LBB4_737
.LBB4_733:                              ;   Parent Loop BB4_47 Depth=1
                                        ;     Parent Loop BB4_676 Depth=2
                                        ; =>    This Inner Loop Header: Depth=3
	s_add_i32 s63, s63, 1
	s_cmpk_lg_i32 s63, 0x2710
	s_cselect_b32 s72, -1, 0
	s_and_b32 vcc_lo, exec_lo, s72
	s_cbranch_vccz .LBB4_735
; %bb.734:                              ;   in Loop: Header=BB4_733 Depth=3
	s_mov_b32 s74, -1
	s_or_b32 s62, s62, exec_lo
	s_and_saveexec_b32 s73, s72
	s_cbranch_execz .LBB4_732
	s_branch .LBB4_736
	.p2align	6
.LBB4_735:                              ;   in Loop: Header=BB4_733 Depth=3
	s_trap 2
	ds_read_b64 v[8:9], v0
	s_andn2_b32 s72, s72, exec_lo
	s_mov_b32 s63, 0
	s_waitcnt lgkmcnt(0)
	s_waitcnt_vscnt null, 0x0
	flat_load_dword v8, v[8:9] glc dlc
	s_waitcnt vmcnt(0) lgkmcnt(0)
	buffer_gl1_inv
	buffer_gl0_inv
	v_cmp_eq_u32_e32 vcc_lo, 0, v8
	s_and_b32 s73, vcc_lo, exec_lo
	s_or_b32 s72, s72, s73
	s_mov_b32 s74, -1
	s_or_b32 s62, s62, exec_lo
	s_and_saveexec_b32 s73, s72
	s_cbranch_execz .LBB4_732
.LBB4_736:                              ;   in Loop: Header=BB4_733 Depth=3
	s_sleep 1
	s_trap 2
	ds_read_b64 v[8:9], v0
	s_waitcnt lgkmcnt(0)
	buffer_gl0_inv
	s_andn2_b32 s62, s62, exec_lo
	v_cmp_ge_u64_e32 vcc_lo, v[8:9], v[12:13]
	s_orn2_b32 s74, vcc_lo, exec_lo
	s_branch .LBB4_732
.LBB4_737:                              ;   in Loop: Header=BB4_676 Depth=2
	s_inst_prefetch 0x2
	s_or_b32 exec_lo, exec_lo, s23
	s_and_saveexec_b32 s23, s61
	s_xor_b32 s23, exec_lo, s23
	s_cbranch_execz .LBB4_739
; %bb.738:                              ;   in Loop: Header=BB4_676 Depth=2
	ds_write_b32 v0, v81
	s_trap 2
.LBB4_739:                              ;   in Loop: Header=BB4_676 Depth=2
	s_or_b32 exec_lo, exec_lo, s22
	;;#ASMSTART
	s_wakeup
	;;#ASMEND
.LBB4_740:                              ;   in Loop: Header=BB4_676 Depth=2
	s_or_b32 exec_lo, exec_lo, s21
.LBB4_741:                              ;   in Loop: Header=BB4_676 Depth=2
	s_andn2_saveexec_b32 s19, s19
	s_cbranch_execz .LBB4_743
; %bb.742:                              ;   in Loop: Header=BB4_676 Depth=2
	;;#ASMSTART
	s_waitcnt lgkmcnt(0) vmcnt(0)
	;;#ASMEND
	s_barrier
.LBB4_743:                              ;   in Loop: Header=BB4_676 Depth=2
	s_or_b32 exec_lo, exec_lo, s19
	v_and_b32_e32 v8, 16, v69
.LBB4_744:                              ;   in Loop: Header=BB4_676 Depth=2
	s_or_b32 exec_lo, exec_lo, s16
	v_cmp_ne_u32_e32 vcc_lo, 0, v8
	s_xor_b32 s16, s7, -1
	s_and_b32 s19, vcc_lo, s16
	s_and_saveexec_b32 s16, s19
	s_cbranch_execz .LBB4_746
; %bb.745:                              ;   in Loop: Header=BB4_676 Depth=2
	s_waitcnt vmcnt(0) lgkmcnt(0)
	s_waitcnt_vscnt null, 0x0
	flat_store_dword v[24:25], v81
.LBB4_746:                              ;   in Loop: Header=BB4_676 Depth=2
	s_or_b32 exec_lo, exec_lo, s16
	v_and_b32_e32 v8, 48, v69
	s_mov_b32 s16, exec_lo
	v_cmpx_ne_u32_e32 0, v8
	s_cbranch_execz .LBB4_675
; %bb.747:                              ;   in Loop: Header=BB4_676 Depth=2
	v_add_co_u32 v36, vcc_lo, v36, 2
	v_add_co_ci_u32_e64 v37, null, 0, v37, vcc_lo
	s_waitcnt vmcnt(0) lgkmcnt(0)
	s_waitcnt_vscnt null, 0x0
	flat_store_dwordx2 v[20:21], v[36:37]
	s_branch .LBB4_675
.LBB4_748:                              ;   in Loop: Header=BB4_47 Depth=1
	s_or_b32 exec_lo, exec_lo, s18
.LBB4_749:                              ;   in Loop: Header=BB4_47 Depth=1
	s_or_b32 exec_lo, exec_lo, s17
	s_andn2_b32 vcc_lo, exec_lo, s46
	s_cbranch_vccnz .LBB4_1010
; %bb.750:                              ;   in Loop: Header=BB4_47 Depth=1
	s_mov_b32 s21, 1
.LBB4_751:                              ;   Parent Loop BB4_47 Depth=1
                                        ; =>  This Loop Header: Depth=2
                                        ;       Child Loop BB4_754 Depth 3
                                        ;         Child Loop BB4_762 Depth 4
                                        ;         Child Loop BB4_790 Depth 4
	;; [unrolled: 1-line block ×5, first 2 shown]
                                        ;           Child Loop BB4_842 Depth 5
                                        ;         Child Loop BB4_851 Depth 4
                                        ;         Child Loop BB4_856 Depth 4
                                        ;           Child Loop BB4_857 Depth 5
                                        ;         Child Loop BB4_869 Depth 4
                                        ;         Child Loop BB4_874 Depth 4
	;; [unrolled: 1-line block ×6, first 2 shown]
                                        ;       Child Loop BB4_935 Depth 3
                                        ;         Child Loop BB4_941 Depth 4
                                        ;         Child Loop BB4_969 Depth 4
	;; [unrolled: 1-line block ×3, first 2 shown]
	s_sub_i32 s16, s42, s21
	v_mov_b32_e32 v55, 0
	s_cmp_ge_i32 s16, s25
	s_mov_b32 s62, 0
	s_cselect_b32 s17, s25, 0
	s_sub_i32 s16, s16, s17
	s_ashr_i32 s17, s16, 31
	v_mul_lo_u32 v3, v35, s16
	v_mad_u64_u32 v[8:9], null, v34, s16, 0
	v_mul_lo_u32 v10, v34, s17
	v_add3_u32 v9, v9, v10, v3
	v_sub_co_u32 v10, vcc_lo, v38, v8
	v_sub_co_ci_u32_e64 v11, null, v39, v9, vcc_lo
	v_cmp_lt_i64_e32 vcc_lo, v[34:35], v[10:11]
	v_cndmask_b32_e32 v11, v10, v34, vcc_lo
	v_max_i32_e32 v3, 0, v11
	v_cmp_lt_i32_e32 vcc_lo, 0, v11
	v_add_nc_u32_e32 v10, 31, v3
	s_and_b32 s16, s57, vcc_lo
	v_lshrrev_b32_e32 v10, 1, v10
	v_and_b32_e32 v48, 0x3ffffff0, v10
	v_mov_b32_e32 v10, 0
	v_max_i32_e32 v48, s45, v48
	s_and_saveexec_b32 s61, s16
	s_cbranch_execz .LBB4_932
; %bb.752:                              ;   in Loop: Header=BB4_751 Depth=2
	v_add_co_u32 v66, vcc_lo, v8, v118
	v_add_co_ci_u32_e64 v67, null, v9, v119, vcc_lo
	v_mov_b32_e32 v55, 0
	s_mov_b32 s72, 1
	s_mov_b32 s63, -1
	s_branch .LBB4_754
.LBB4_753:                              ;   in Loop: Header=BB4_754 Depth=3
	s_or_b32 exec_lo, exec_lo, s16
	v_add_nc_u32_e32 v55, v48, v55
	s_xor_b32 s16, s63, -1
	v_mov_b32_e32 v10, s72
	s_mov_b32 s63, 0
	s_mov_b32 s72, 2
	v_cmp_ge_i32_e32 vcc_lo, v55, v3
	s_or_b32 s16, s16, vcc_lo
	s_and_b32 s16, exec_lo, s16
	s_or_b32 s62, s16, s62
	s_andn2_b32 exec_lo, exec_lo, s62
	s_cbranch_execz .LBB4_931
.LBB4_754:                              ;   Parent Loop BB4_47 Depth=1
                                        ;     Parent Loop BB4_751 Depth=2
                                        ; =>    This Loop Header: Depth=3
                                        ;         Child Loop BB4_762 Depth 4
                                        ;         Child Loop BB4_790 Depth 4
	;; [unrolled: 1-line block ×5, first 2 shown]
                                        ;           Child Loop BB4_842 Depth 5
                                        ;         Child Loop BB4_851 Depth 4
                                        ;         Child Loop BB4_856 Depth 4
                                        ;           Child Loop BB4_857 Depth 5
                                        ;         Child Loop BB4_869 Depth 4
                                        ;         Child Loop BB4_874 Depth 4
	;; [unrolled: 1-line block ×6, first 2 shown]
	s_and_saveexec_b32 s17, s4
	s_cbranch_execz .LBB4_756
; %bb.755:                              ;   in Loop: Header=BB4_754 Depth=3
	s_trap 2
	ds_read_b128 v[8:11], v0
	v_ashrrev_i32_e32 v49, 31, v55
	s_waitcnt lgkmcnt(0)
	v_add_co_u32 v50, vcc_lo, v10, v66
	v_add_co_ci_u32_e64 v51, null, v11, v67, vcc_lo
	v_add_co_u32 v8, vcc_lo, v8, v66
	v_add_co_ci_u32_e64 v9, null, v9, v67, vcc_lo
	v_add_co_u32 v50, vcc_lo, v50, v55
	v_add_co_ci_u32_e64 v51, null, v51, v49, vcc_lo
	v_cmp_ne_u64_e32 vcc_lo, 0, v[10:11]
	v_add_co_u32 v8, s16, v8, v55
	v_add_co_ci_u32_e64 v9, null, v9, v49, s16
	v_cndmask_b32_e32 v11, 0, v51, vcc_lo
	v_cndmask_b32_e32 v10, 0, v50, vcc_lo
	ds_write_b64 v0, v[8:9]
	ds_write_b64 v0, v[10:11]
.LBB4_756:                              ;   in Loop: Header=BB4_754 Depth=3
	s_or_b32 exec_lo, exec_lo, s17
	v_sub_nc_u32_e32 v8, v3, v55
	v_and_b32_e32 v9, 12, v69
	s_mov_b32 s17, exec_lo
	v_min_i32_e32 v48, v48, v8
	v_cmpx_ne_u32_e32 0, v9
	s_cbranch_execz .LBB4_782
; %bb.757:                              ;   in Loop: Header=BB4_754 Depth=3
	v_and_b32_e32 v51, 8, v69
	s_mov_b32 s18, exec_lo
	s_waitcnt vmcnt(0) lgkmcnt(1)
	v_add_co_u32 v10, vcc_lo, v26, v51
	v_add_co_ci_u32_e64 v11, null, 0, v27, vcc_lo
	v_add_co_u32 v8, vcc_lo, v36, 2
	v_add_co_ci_u32_e64 v9, null, 0, v37, vcc_lo
	v_cmpx_lt_u64_e64 v[10:11], v[8:9]
	s_cbranch_execz .LBB4_769
; %bb.758:                              ;   in Loop: Header=BB4_754 Depth=3
	v_and_b32_e32 v10, 64, v69
	s_mov_b32 s19, 0
	s_mov_b32 s74, 0
                                        ; implicit-def: $sgpr22
                                        ; implicit-def: $sgpr23
                                        ; implicit-def: $sgpr73
	v_cmp_eq_u32_e32 vcc_lo, 0, v10
	s_branch .LBB4_762
.LBB4_759:                              ;   in Loop: Header=BB4_762 Depth=4
	s_waitcnt vmcnt(0) lgkmcnt(0)
	v_add_co_u32 v49, s16, v26, v51
	v_add_co_ci_u32_e64 v50, null, 0, v27, s16
	s_or_b32 s77, s77, exec_lo
	v_cmp_ge_u64_e64 s16, v[49:50], v[8:9]
	s_orn2_b32 s76, s16, exec_lo
.LBB4_760:                              ;   in Loop: Header=BB4_762 Depth=4
	s_or_b32 exec_lo, exec_lo, s79
	s_andn2_b32 s16, s73, exec_lo
	s_and_b32 s73, s77, exec_lo
	s_andn2_b32 s23, s23, exec_lo
	s_and_b32 s76, s76, exec_lo
	s_or_b32 s73, s16, s73
	s_or_b32 s23, s23, s76
.LBB4_761:                              ;   in Loop: Header=BB4_762 Depth=4
	s_or_b32 exec_lo, exec_lo, s75
	s_and_b32 s16, exec_lo, s23
	s_or_b32 s19, s16, s19
	s_andn2_b32 s16, s22, exec_lo
	s_and_b32 s22, s73, exec_lo
	s_or_b32 s22, s16, s22
	s_andn2_b32 exec_lo, exec_lo, s19
	s_cbranch_execz .LBB4_766
.LBB4_762:                              ;   Parent Loop BB4_47 Depth=1
                                        ;     Parent Loop BB4_751 Depth=2
                                        ;       Parent Loop BB4_754 Depth=3
                                        ; =>      This Inner Loop Header: Depth=4
	s_sleep 1
	s_waitcnt vmcnt(0) lgkmcnt(0)
	flat_load_dwordx2 v[26:27], v[20:21] glc dlc
	s_or_b32 s73, s73, exec_lo
	s_or_b32 s23, s23, exec_lo
                                        ; implicit-def: $vgpr10
	s_and_saveexec_b32 s75, vcc_lo
	s_cbranch_execz .LBB4_761
; %bb.763:                              ;   in Loop: Header=BB4_762 Depth=4
	s_cmpk_lt_i32 s74, 0x270f
	s_mov_b32 s76, -1
	s_cselect_b32 s78, -1, 0
	s_cmpk_gt_i32 s74, 0x270e
	s_cbranch_scc0 .LBB4_765
; %bb.764:                              ;   in Loop: Header=BB4_762 Depth=4
	s_trap 2
	ds_read_b64 v[10:11], v0
	s_andn2_b32 s74, s78, exec_lo
	s_mov_b32 s77, 0
	s_waitcnt vmcnt(0) lgkmcnt(0)
	s_waitcnt_vscnt null, 0x0
	flat_load_dword v10, v[10:11] glc dlc
	s_waitcnt vmcnt(0) lgkmcnt(0)
	buffer_gl1_inv
	buffer_gl0_inv
	v_cmp_eq_u32_e64 s16, 0, v10
	s_and_b32 s16, s16, exec_lo
	s_or_b32 s78, s74, s16
	s_mov_b32 s74, 0
	s_and_saveexec_b32 s79, s78
	s_cbranch_execz .LBB4_760
	s_branch .LBB4_759
.LBB4_765:                              ;   in Loop: Header=BB4_762 Depth=4
	s_add_i32 s74, s74, 1
	s_mov_b32 s77, -1
                                        ; implicit-def: $vgpr10
	s_and_saveexec_b32 s79, s78
	s_cbranch_execz .LBB4_760
	s_branch .LBB4_759
.LBB4_766:                              ;   in Loop: Header=BB4_754 Depth=3
	s_or_b32 exec_lo, exec_lo, s19
	s_xor_b32 s16, s22, -1
	s_and_saveexec_b32 s19, s16
	s_xor_b32 s16, exec_lo, s19
	s_cbranch_execz .LBB4_768
; %bb.767:                              ;   in Loop: Header=BB4_754 Depth=3
	v_or_b32_e32 v69, 64, v69
	s_waitcnt vmcnt(0) lgkmcnt(0)
	s_waitcnt_vscnt null, 0x0
	ds_write_b32 v0, v10
	s_trap 2
.LBB4_768:                              ;   in Loop: Header=BB4_754 Depth=3
	s_or_b32 exec_lo, exec_lo, s16
.LBB4_769:                              ;   in Loop: Header=BB4_754 Depth=3
	s_or_b32 exec_lo, exec_lo, s18
	v_and_b32_e32 v10, 0x108, v69
	;;#ASMSTART
	s_wakeup
	;;#ASMEND
	v_cmp_ne_u32_e32 vcc_lo, 0x108, v10
                                        ; implicit-def: $vgpr10_vgpr11
	s_and_saveexec_b32 s16, vcc_lo
	s_xor_b32 s16, exec_lo, s16
; %bb.770:                              ;   in Loop: Header=BB4_754 Depth=3
	v_and_b32_e32 v10, 7, v36
	v_mov_b32_e32 v11, v2
                                        ; implicit-def: $vgpr36_vgpr37
; %bb.771:                              ;   in Loop: Header=BB4_754 Depth=3
	s_andn2_saveexec_b32 s16, s16
	s_cbranch_execz .LBB4_773
; %bb.772:                              ;   in Loop: Header=BB4_754 Depth=3
	v_and_b32_e32 v10, 7, v36
	v_ashrrev_i32_e32 v49, 31, v48
	v_mov_b32_e32 v11, v2
	v_mad_u64_u32 v[36:37], null, v10, 24, v[6:7]
	flat_store_dwordx2 v[36:37], v[48:49] offset:8
.LBB4_773:                              ;   in Loop: Header=BB4_754 Depth=3
	s_or_b32 exec_lo, exec_lo, s16
	v_and_b32_e32 v36, 0x100, v69
	s_mov_b32 s16, -1
	v_cmp_ne_u32_e32 vcc_lo, 0, v36
                                        ; implicit-def: $vgpr36_vgpr37
	s_and_saveexec_b32 s18, vcc_lo
	s_cbranch_execz .LBB4_777
; %bb.774:                              ;   in Loop: Header=BB4_754 Depth=3
	v_mad_u64_u32 v[49:50], null, v10, 24, v[6:7]
	v_mov_b32_e32 v36, v50
	v_mad_u64_u32 v[36:37], null, v11, 24, v[36:37]
	v_mov_b32_e32 v50, v36
	flat_load_dword v36, v[49:50]
	s_waitcnt vmcnt(0) lgkmcnt(0)
	v_cmp_eq_u32_e64 s16, 1, v36
	v_cmp_ne_u32_e32 vcc_lo, 1, v36
                                        ; implicit-def: $vgpr36_vgpr37
	s_and_saveexec_b32 s19, s16
	s_cbranch_execz .LBB4_776
; %bb.775:                              ;   in Loop: Header=BB4_754 Depth=3
	flat_load_dword v36, v[49:50] offset:4 glc dlc
	s_waitcnt vmcnt(0) lgkmcnt(0)
	v_ashrrev_i32_e32 v37, 31, v36
.LBB4_776:                              ;   in Loop: Header=BB4_754 Depth=3
	s_or_b32 exec_lo, exec_lo, s19
	s_orn2_b32 s16, vcc_lo, exec_lo
.LBB4_777:                              ;   in Loop: Header=BB4_754 Depth=3
	s_or_b32 exec_lo, exec_lo, s18
	s_and_saveexec_b32 s18, s16
; %bb.778:                              ;   in Loop: Header=BB4_754 Depth=3
	v_mul_lo_u32 v11, v11, v70
	v_mul_lo_u32 v49, v10, v30
	v_mad_u64_u32 v[36:37], null, v10, v70, 0
	v_add3_u32 v37, v37, v49, v11
; %bb.779:                              ;   in Loop: Header=BB4_754 Depth=3
	s_or_b32 exec_lo, exec_lo, s18
	v_cmp_eq_u32_e32 vcc_lo, 0, v51
	v_and_b32_e32 v50, 0x2000, v69
	s_mov_b32 s16, exec_lo
	v_cndmask_b32_e32 v49, 0xd0, v84, vcc_lo
	v_add_co_u32 v10, vcc_lo, v22, v36
	v_add_co_ci_u32_e64 v11, null, v23, v37, vcc_lo
	v_add_nc_u32_e32 v36, v0, v49
	ds_write_b64 v36, v[10:11] offset:584
	v_cmpx_ne_u32_e32 0, v50
	s_cbranch_execz .LBB4_781
; %bb.780:                              ;   in Loop: Header=BB4_754 Depth=3
	ds_read_b64 v[10:11], v0 offset:872
	s_waitcnt lgkmcnt(0)
	v_add_co_u32 v10, vcc_lo, v10, 1
	v_add_co_ci_u32_e64 v11, null, 0, v11, vcc_lo
	ds_write_b64 v0, v[10:11] offset:872
.LBB4_781:                              ;   in Loop: Header=BB4_754 Depth=3
	s_or_b32 exec_lo, exec_lo, s16
	v_mov_b32_e32 v37, v9
	v_mov_b32_e32 v36, v8
.LBB4_782:                              ;   in Loop: Header=BB4_754 Depth=3
	s_or_b32 exec_lo, exec_lo, s17
	s_and_saveexec_b32 s16, s6
	s_cbranch_execz .LBB4_801
; %bb.783:                              ;   in Loop: Header=BB4_754 Depth=3
	s_and_saveexec_b32 s17, s29
	s_xor_b32 s17, exec_lo, s17
	s_cbranch_execz .LBB4_798
; %bb.784:                              ;   in Loop: Header=BB4_754 Depth=3
	s_and_saveexec_b32 s18, s11
	s_cbranch_execz .LBB4_797
; %bb.785:                              ;   in Loop: Header=BB4_754 Depth=3
	s_mov_b32 s22, exec_lo
	s_mov_b32 s19, exec_lo
	v_mbcnt_lo_u32_b32 v8, s22, 0
	s_waitcnt vmcnt(0) lgkmcnt(0)
	s_waitcnt_vscnt null, 0x0
	buffer_gl1_inv
	buffer_gl0_inv
	v_cmpx_eq_u32_e32 0, v8
	s_cbranch_execz .LBB4_787
; %bb.786:                              ;   in Loop: Header=BB4_754 Depth=3
	s_bcnt1_i32_b32 s22, s22
	v_mov_b32_e32 v9, v2
	v_mov_b32_e32 v8, s22
	ds_add_u64 v0, v[8:9]
	s_trap 2
.LBB4_787:                              ;   in Loop: Header=BB4_754 Depth=3
	s_or_b32 exec_lo, exec_lo, s19
	s_trap 2
	ds_read_b64 v[8:9], v0
	s_waitcnt lgkmcnt(0)
	buffer_gl0_inv
	v_add_co_u32 v12, vcc_lo, v12, v71
	v_add_co_ci_u32_e64 v13, null, 0, v13, vcc_lo
	s_mov_b32 s19, exec_lo
	v_cmpx_lt_u64_e64 v[8:9], v[12:13]
	s_cbranch_execz .LBB4_796
; %bb.788:                              ;   in Loop: Header=BB4_754 Depth=3
	s_mov_b32 s22, 0
	s_mov_b32 s74, 0
                                        ; implicit-def: $sgpr23
                                        ; implicit-def: $sgpr73
	s_inst_prefetch 0x1
	s_branch .LBB4_790
	.p2align	6
.LBB4_789:                              ;   in Loop: Header=BB4_790 Depth=4
	s_or_b32 exec_lo, exec_lo, s76
	s_and_b32 s75, exec_lo, s77
	s_or_b32 s22, s75, s22
	s_andn2_b32 s23, s23, exec_lo
	s_and_b32 s75, s73, exec_lo
	s_or_b32 s23, s23, s75
	s_andn2_b32 exec_lo, exec_lo, s22
	s_cbranch_execz .LBB4_794
.LBB4_790:                              ;   Parent Loop BB4_47 Depth=1
                                        ;     Parent Loop BB4_751 Depth=2
                                        ;       Parent Loop BB4_754 Depth=3
                                        ; =>      This Inner Loop Header: Depth=4
	s_add_i32 s74, s74, 1
	s_cmpk_lg_i32 s74, 0x2710
	s_cselect_b32 s75, -1, 0
	s_and_b32 vcc_lo, exec_lo, s75
	s_cbranch_vccz .LBB4_792
; %bb.791:                              ;   in Loop: Header=BB4_790 Depth=4
	s_mov_b32 s77, -1
	s_or_b32 s73, s73, exec_lo
	s_and_saveexec_b32 s76, s75
	s_cbranch_execz .LBB4_789
	s_branch .LBB4_793
	.p2align	6
.LBB4_792:                              ;   in Loop: Header=BB4_790 Depth=4
	s_trap 2
	ds_read_b64 v[8:9], v0
	s_andn2_b32 s75, s75, exec_lo
	s_mov_b32 s74, 0
	s_waitcnt lgkmcnt(0)
	flat_load_dword v8, v[8:9] glc dlc
	s_waitcnt vmcnt(0) lgkmcnt(0)
	buffer_gl1_inv
	buffer_gl0_inv
	v_cmp_eq_u32_e32 vcc_lo, 0, v8
	s_and_b32 s76, vcc_lo, exec_lo
	s_or_b32 s75, s75, s76
	s_mov_b32 s77, -1
	s_or_b32 s73, s73, exec_lo
	s_and_saveexec_b32 s76, s75
	s_cbranch_execz .LBB4_789
.LBB4_793:                              ;   in Loop: Header=BB4_790 Depth=4
	s_sleep 1
	s_trap 2
	ds_read_b64 v[8:9], v0
	s_waitcnt lgkmcnt(0)
	buffer_gl0_inv
	s_andn2_b32 s73, s73, exec_lo
	v_cmp_ge_u64_e32 vcc_lo, v[8:9], v[12:13]
	s_orn2_b32 s77, vcc_lo, exec_lo
	s_branch .LBB4_789
.LBB4_794:                              ;   in Loop: Header=BB4_754 Depth=3
	s_inst_prefetch 0x2
	s_or_b32 exec_lo, exec_lo, s22
	s_and_saveexec_b32 s22, s23
	s_xor_b32 s22, exec_lo, s22
	s_cbranch_execz .LBB4_796
; %bb.795:                              ;   in Loop: Header=BB4_754 Depth=3
	ds_write_b32 v0, v81
	s_trap 2
.LBB4_796:                              ;   in Loop: Header=BB4_754 Depth=3
	s_or_b32 exec_lo, exec_lo, s19
	;;#ASMSTART
	s_wakeup
	;;#ASMEND
.LBB4_797:                              ;   in Loop: Header=BB4_754 Depth=3
	s_or_b32 exec_lo, exec_lo, s18
.LBB4_798:                              ;   in Loop: Header=BB4_754 Depth=3
	s_andn2_saveexec_b32 s17, s17
	s_cbranch_execz .LBB4_800
; %bb.799:                              ;   in Loop: Header=BB4_754 Depth=3
	s_waitcnt vmcnt(0) lgkmcnt(0)
	s_waitcnt_vscnt null, 0x0
	buffer_gl1_inv
	buffer_gl0_inv
	s_barrier
.LBB4_800:                              ;   in Loop: Header=BB4_754 Depth=3
	s_or_b32 exec_lo, exec_lo, s17
.LBB4_801:                              ;   in Loop: Header=BB4_754 Depth=3
	s_or_b32 exec_lo, exec_lo, s16
	s_trap 2
	ds_read_b32 v8, v0
	v_and_b32_e32 v9, 0x4000, v69
	s_xor_b32 s16, s5, -1
	v_cmp_ne_u32_e32 vcc_lo, 0, v9
	s_and_b32 s17, s16, vcc_lo
	s_and_saveexec_b32 s16, s17
	s_cbranch_execz .LBB4_820
; %bb.802:                              ;   in Loop: Header=BB4_754 Depth=3
	s_and_saveexec_b32 s17, s29
	s_xor_b32 s17, exec_lo, s17
	s_cbranch_execz .LBB4_817
; %bb.803:                              ;   in Loop: Header=BB4_754 Depth=3
	s_and_saveexec_b32 s18, s11
	s_cbranch_execz .LBB4_816
; %bb.804:                              ;   in Loop: Header=BB4_754 Depth=3
	s_mov_b32 s22, exec_lo
	s_mov_b32 s19, exec_lo
	v_mbcnt_lo_u32_b32 v9, s22, 0
	s_waitcnt vmcnt(0) lgkmcnt(0)
	s_waitcnt_vscnt null, 0x0
	buffer_gl1_inv
	buffer_gl0_inv
	v_cmpx_eq_u32_e32 0, v9
	s_cbranch_execz .LBB4_806
; %bb.805:                              ;   in Loop: Header=BB4_754 Depth=3
	s_bcnt1_i32_b32 s22, s22
	v_mov_b32_e32 v10, v2
	v_mov_b32_e32 v9, s22
	ds_add_u64 v0, v[9:10]
	s_trap 2
.LBB4_806:                              ;   in Loop: Header=BB4_754 Depth=3
	s_or_b32 exec_lo, exec_lo, s19
	s_trap 2
	ds_read_b64 v[9:10], v0
	s_waitcnt lgkmcnt(0)
	buffer_gl0_inv
	v_add_co_u32 v12, vcc_lo, v12, v71
	v_add_co_ci_u32_e64 v13, null, 0, v13, vcc_lo
	s_mov_b32 s19, exec_lo
	v_cmpx_lt_u64_e64 v[9:10], v[12:13]
	s_cbranch_execz .LBB4_815
; %bb.807:                              ;   in Loop: Header=BB4_754 Depth=3
	s_mov_b32 s22, 0
	s_mov_b32 s74, 0
                                        ; implicit-def: $sgpr23
                                        ; implicit-def: $sgpr73
	s_inst_prefetch 0x1
	s_branch .LBB4_809
	.p2align	6
.LBB4_808:                              ;   in Loop: Header=BB4_809 Depth=4
	s_or_b32 exec_lo, exec_lo, s76
	s_and_b32 s75, exec_lo, s77
	s_or_b32 s22, s75, s22
	s_andn2_b32 s23, s23, exec_lo
	s_and_b32 s75, s73, exec_lo
	s_or_b32 s23, s23, s75
	s_andn2_b32 exec_lo, exec_lo, s22
	s_cbranch_execz .LBB4_813
.LBB4_809:                              ;   Parent Loop BB4_47 Depth=1
                                        ;     Parent Loop BB4_751 Depth=2
                                        ;       Parent Loop BB4_754 Depth=3
                                        ; =>      This Inner Loop Header: Depth=4
	s_add_i32 s74, s74, 1
	s_cmpk_lg_i32 s74, 0x2710
	s_cselect_b32 s75, -1, 0
	s_and_b32 vcc_lo, exec_lo, s75
	s_cbranch_vccz .LBB4_811
; %bb.810:                              ;   in Loop: Header=BB4_809 Depth=4
	s_mov_b32 s77, -1
	s_or_b32 s73, s73, exec_lo
	s_and_saveexec_b32 s76, s75
	s_cbranch_execz .LBB4_808
	s_branch .LBB4_812
	.p2align	6
.LBB4_811:                              ;   in Loop: Header=BB4_809 Depth=4
	s_trap 2
	ds_read_b64 v[9:10], v0
	s_andn2_b32 s75, s75, exec_lo
	s_mov_b32 s74, 0
	s_waitcnt lgkmcnt(0)
	flat_load_dword v9, v[9:10] glc dlc
	s_waitcnt vmcnt(0) lgkmcnt(0)
	buffer_gl1_inv
	buffer_gl0_inv
	v_cmp_eq_u32_e32 vcc_lo, 0, v9
	s_and_b32 s76, vcc_lo, exec_lo
	s_or_b32 s75, s75, s76
	s_mov_b32 s77, -1
	s_or_b32 s73, s73, exec_lo
	s_and_saveexec_b32 s76, s75
	s_cbranch_execz .LBB4_808
.LBB4_812:                              ;   in Loop: Header=BB4_809 Depth=4
	s_sleep 1
	s_trap 2
	ds_read_b64 v[9:10], v0
	s_waitcnt lgkmcnt(0)
	buffer_gl0_inv
	s_andn2_b32 s73, s73, exec_lo
	v_cmp_ge_u64_e32 vcc_lo, v[9:10], v[12:13]
	s_orn2_b32 s77, vcc_lo, exec_lo
	s_branch .LBB4_808
.LBB4_813:                              ;   in Loop: Header=BB4_754 Depth=3
	s_inst_prefetch 0x2
	s_or_b32 exec_lo, exec_lo, s22
	s_and_saveexec_b32 s22, s23
	s_xor_b32 s22, exec_lo, s22
	s_cbranch_execz .LBB4_815
; %bb.814:                              ;   in Loop: Header=BB4_754 Depth=3
	ds_write_b32 v0, v81
	s_trap 2
.LBB4_815:                              ;   in Loop: Header=BB4_754 Depth=3
	s_or_b32 exec_lo, exec_lo, s19
	;;#ASMSTART
	s_wakeup
	;;#ASMEND
.LBB4_816:                              ;   in Loop: Header=BB4_754 Depth=3
	s_or_b32 exec_lo, exec_lo, s18
.LBB4_817:                              ;   in Loop: Header=BB4_754 Depth=3
	s_andn2_saveexec_b32 s17, s17
	s_cbranch_execz .LBB4_819
; %bb.818:                              ;   in Loop: Header=BB4_754 Depth=3
	s_waitcnt vmcnt(0) lgkmcnt(0)
	s_waitcnt_vscnt null, 0x0
	buffer_gl1_inv
	buffer_gl0_inv
	s_barrier
.LBB4_819:                              ;   in Loop: Header=BB4_754 Depth=3
	s_or_b32 exec_lo, exec_lo, s17
.LBB4_820:                              ;   in Loop: Header=BB4_754 Depth=3
	s_or_b32 exec_lo, exec_lo, s16
	s_trap 2
	ds_read_b64 v[49:50], v0
	s_waitcnt lgkmcnt(0)
	v_cmp_eq_u64_e32 vcc_lo, 0, v[49:50]
	s_cbranch_vccnz .LBB4_829
; %bb.821:                              ;   in Loop: Header=BB4_754 Depth=3
	s_trap 2
	ds_read_b64 v[51:52], v0
	s_waitcnt lgkmcnt(0)
	v_cmp_eq_u64_e32 vcc_lo, 0, v[51:52]
	s_cbranch_vccnz .LBB4_829
; %bb.822:                              ;   in Loop: Header=BB4_754 Depth=3
	s_trap 2
	ds_read_b64 v[53:54], v0
	v_cmp_eq_u32_e64 s16, 0, v8
	v_cndmask_b32_e64 v40, 0, v48, s16
	s_mov_b32 s16, -1
	s_waitcnt lgkmcnt(0)
	v_cmp_ne_u64_e32 vcc_lo, 0, v[53:54]
	s_cbranch_vccz .LBB4_860
; %bb.823:                              ;   in Loop: Header=BB4_754 Depth=3
	s_and_saveexec_b32 s17, s14
	s_cbranch_execz .LBB4_825
; %bb.824:                              ;   in Loop: Header=BB4_754 Depth=3
	ds_read_b32 v8, v0 offset:720
	s_waitcnt lgkmcnt(0)
	v_and_b32_e32 v8, 15, v8
	v_cmp_eq_u32_e32 vcc_lo, 0, v8
	s_orn2_b32 s16, vcc_lo, exec_lo
.LBB4_825:                              ;   in Loop: Header=BB4_754 Depth=3
	s_or_b32 exec_lo, exec_lo, s17
	s_and_saveexec_b32 s17, s15
	s_cbranch_execz .LBB4_827
; %bb.826:                              ;   in Loop: Header=BB4_754 Depth=3
	ds_read_b32 v8, v0 offset:784
	s_waitcnt lgkmcnt(0)
	v_and_b32_e32 v8, 15, v8
	v_cmp_eq_u32_e32 vcc_lo, 0, v8
	s_and_b32 s18, s16, vcc_lo
	s_andn2_b32 s16, s16, exec_lo
	s_and_b32 s18, s18, exec_lo
	s_or_b32 s16, s16, s18
.LBB4_827:                              ;   in Loop: Header=BB4_754 Depth=3
	s_or_b32 exec_lo, exec_lo, s17
	s_xor_b32 s16, s16, -1
	v_mov_b32_e32 v64, 0
	v_cndmask_b32_e64 v8, 0, 1, s16
	v_mov_b32_e32 v65, v40
	v_mov_b32_e32 v41, v0
	s_mov_b32 s16, -1
	v_cmp_ne_u32_e32 vcc_lo, 0, v8
	v_mov_b32_e32 v8, v99
	s_cbranch_vccz .LBB4_834
; %bb.828:                              ;   in Loop: Header=BB4_754 Depth=3
	s_and_saveexec_b32 s22, s16
	s_cbranch_execnz .LBB4_849
	s_branch .LBB4_859
.LBB4_829:                              ;   in Loop: Header=BB4_754 Depth=3
	s_mov_b32 s16, 0
	s_and_saveexec_b32 s17, s6
	s_cbranch_execnz .LBB4_890
.LBB4_830:                              ;   in Loop: Header=BB4_754 Depth=3
	s_or_b32 exec_lo, exec_lo, s17
                                        ; implicit-def: $vgpr8
	s_and_saveexec_b32 s17, s13
	s_xor_b32 s17, exec_lo, s17
	s_cbranch_execz .LBB4_908
.LBB4_831:                              ;   in Loop: Header=BB4_754 Depth=3
	v_and_b32_e32 v8, 16, v69
	v_cmp_ne_u32_e32 vcc_lo, 0, v8
	v_and_b32_e32 v8, 16, v69
	s_and_b32 s18, vcc_lo, s16
	s_and_saveexec_b32 s16, s18
	s_cbranch_execz .LBB4_833
; %bb.832:                              ;   in Loop: Header=BB4_754 Depth=3
	v_mov_b32_e32 v8, 1
	s_waitcnt vmcnt(0) lgkmcnt(0)
	s_waitcnt_vscnt null, 0x0
	buffer_gl1_inv
	buffer_gl0_inv
.LBB4_833:                              ;   in Loop: Header=BB4_754 Depth=3
	s_or_b32 exec_lo, exec_lo, s16
	s_andn2_saveexec_b32 s16, s17
	s_cbranch_execz .LBB4_927
	s_branch .LBB4_909
.LBB4_834:                              ;   in Loop: Header=BB4_754 Depth=3
	v_ashrrev_i32_e32 v8, 31, v40
	s_mov_b32 s17, exec_lo
	v_lshrrev_b32_e32 v8, 22, v8
	v_add_nc_u32_e32 v8, v40, v8
	v_ashrrev_i32_e32 v41, 10, v8
	v_sub_nc_u32_e32 v43, v41, v99
	v_cmpx_lt_i32_e32 0, v43
	s_cbranch_execz .LBB4_838
; %bb.835:                              ;   in Loop: Header=BB4_754 Depth=3
	v_add_co_u32 v8, vcc_lo, v49, v115
	v_add_co_ci_u32_e64 v9, null, v50, v117, vcc_lo
	v_add_co_u32 v10, vcc_lo, v51, v115
	v_add_co_ci_u32_e64 v11, null, v52, v117, vcc_lo
	;; [unrolled: 2-line block ×3, first 2 shown]
	s_mov_b32 s18, 0
	.p2align	6
.LBB4_836:                              ;   Parent Loop BB4_47 Depth=1
                                        ;     Parent Loop BB4_751 Depth=2
                                        ;       Parent Loop BB4_754 Depth=3
                                        ; =>      This Inner Loop Header: Depth=4
	s_clause 0x1
	global_load_dwordx4 v[44:47], v[8:9], off slc
	global_load_dwordx4 v[56:59], v[8:9], off offset:512 slc
	v_sub_nc_u32_e32 v43, v43, v71
	v_add_co_u32 v8, vcc_lo, v8, v87
	v_add_co_ci_u32_e64 v9, null, 0, v9, vcc_lo
	v_cmp_gt_i32_e32 vcc_lo, 1, v43
	s_waitcnt vmcnt(1)
	global_store_dwordx4 v[10:11], v[44:47], off glc slc
	s_waitcnt vmcnt(0)
	global_store_dwordx4 v[10:11], v[56:59], off offset:512 glc slc
	global_store_dwordx4 v[64:65], v[44:47], off glc slc
	global_store_dwordx4 v[64:65], v[56:59], off offset:512 glc slc
	v_add_co_u32 v10, s16, v10, v87
	v_add_co_ci_u32_e64 v11, null, 0, v11, s16
	v_add_co_u32 v64, s16, v64, v87
	v_add_co_ci_u32_e64 v65, null, 0, v65, s16
	s_or_b32 s18, vcc_lo, s18
	s_andn2_b32 exec_lo, exec_lo, s18
	s_cbranch_execnz .LBB4_836
; %bb.837:                              ;   in Loop: Header=BB4_754 Depth=3
	s_or_b32 exec_lo, exec_lo, s18
.LBB4_838:                              ;   in Loop: Header=BB4_754 Depth=3
	s_or_b32 exec_lo, exec_lo, s17
	v_lshlrev_b32_e32 v42, 10, v41
	v_mov_b32_e32 v64, 0
	s_mov_b32 s16, 0
	s_mov_b32 s19, exec_lo
                                        ; implicit-def: $vgpr65
                                        ; implicit-def: $vgpr41
                                        ; implicit-def: $vgpr8
	v_cmpx_ne_u32_e64 v40, v42
	s_cbranch_execz .LBB4_848
; %bb.839:                              ;   in Loop: Header=BB4_754 Depth=3
	v_lshlrev_b32_e32 v8, 5, v43
	v_sub_nc_u32_e32 v10, v40, v42
	s_mov_b32 s73, exec_lo
	v_sub_nc_u32_e32 v8, v101, v8
	v_ashrrev_i32_e32 v11, 31, v10
	v_ashrrev_i32_e32 v9, 31, v8
	v_lshrrev_b32_e32 v11, 23, v11
	v_lshrrev_b32_e32 v9, 27, v9
	v_add_nc_u32_e32 v11, v10, v11
	v_add_nc_u32_e32 v9, v8, v9
	v_and_b32_e32 v43, 0xfffffe00, v11
	v_ashrrev_i32_e32 v11, 9, v11
	v_and_b32_e32 v64, 0xffffffe0, v9
	v_sub_nc_u32_e32 v45, v10, v43
	v_ashrrev_i32_e32 v9, 5, v9
	v_sub_nc_u32_e32 v44, v8, v64
	v_cmp_lt_i32_e64 s16, 15, v45
	v_lshlrev_b32_e32 v8, 4, v44
	v_add_co_ci_u32_e64 v11, null, 0, v11, s16
	v_lshl_add_u32 v8, v9, 9, v8
	v_sub_nc_u32_e32 v46, v11, v9
	v_sub_nc_u32_e32 v41, v10, v8
	v_cmpx_lt_i32_e32 15, v41
	s_cbranch_execz .LBB4_845
; %bb.840:                              ;   in Loop: Header=BB4_754 Depth=3
	v_add_nc_u32_e32 v8, v8, v42
	s_mov_b32 s74, 0
	v_ashrrev_i32_e32 v9, 31, v8
	v_add_co_u32 v64, vcc_lo, v8, v49
	v_add_co_ci_u32_e64 v65, null, v9, v50, vcc_lo
	v_add_co_u32 v47, vcc_lo, v8, v51
	v_add_co_ci_u32_e64 v56, null, v9, v52, vcc_lo
	;; [unrolled: 2-line block ×3, first 2 shown]
	s_inst_prefetch 0x1
	.p2align	6
.LBB4_841:                              ;   Parent Loop BB4_47 Depth=1
                                        ;     Parent Loop BB4_751 Depth=2
                                        ;       Parent Loop BB4_754 Depth=3
                                        ; =>      This Loop Header: Depth=4
                                        ;           Child Loop BB4_842 Depth 5
	global_load_dwordx4 v[8:11], v[64:65], off slc
	s_mov_b64 s[22:23], 0
	s_mov_b32 s75, -1
	.p2align	6
.LBB4_842:                              ;   Parent Loop BB4_47 Depth=1
                                        ;     Parent Loop BB4_751 Depth=2
                                        ;       Parent Loop BB4_754 Depth=3
                                        ;         Parent Loop BB4_841 Depth=4
                                        ; =>        This Inner Loop Header: Depth=5
	s_cmp_eq_u32 s22, 1
	s_cselect_b32 vcc_lo, -1, 0
	s_cmp_eq_u32 s22, 0
	v_cndmask_b32_e32 v59, v47, v57, vcc_lo
	v_cndmask_b32_e32 v60, v56, v58, vcc_lo
	s_mov_b64 s[22:23], 1
	v_add_co_u32 v61, s17, 0x200, v59
	v_add_co_ci_u32_e64 v62, null, 0, v60, s17
	s_cselect_b32 s17, -1, 0
	v_cndmask_b32_e32 v57, v57, v61, vcc_lo
	v_cndmask_b32_e64 v47, v47, v61, s17
	v_cndmask_b32_e32 v58, v58, v62, vcc_lo
	v_cndmask_b32_e64 v56, v56, v62, s17
	s_and_b32 s18, exec_lo, s75
	s_mov_b32 s75, 0
	s_mov_b32 vcc_lo, s18
	s_waitcnt vmcnt(0)
	global_store_dwordx4 v[59:60], v[8:11], off glc slc
	s_cbranch_vccnz .LBB4_842
; %bb.843:                              ;   in Loop: Header=BB4_841 Depth=4
	v_sub_nc_u32_e32 v41, v41, v86
	v_add_co_u32 v47, vcc_lo, v47, v97
	v_add_co_ci_u32_e64 v56, null, v56, v100, vcc_lo
	v_add_co_u32 v57, vcc_lo, v57, v97
	v_add_co_ci_u32_e64 v58, null, v58, v100, vcc_lo
	v_cmp_gt_i32_e32 vcc_lo, 16, v41
	v_add_co_u32 v64, s17, v113, v64
	v_add_co_ci_u32_e64 v65, null, v114, v65, s17
	v_sub_nc_u32_e32 v46, v46, v71
	s_or_b32 s74, vcc_lo, s74
	s_andn2_b32 exec_lo, exec_lo, s74
	s_cbranch_execnz .LBB4_841
; %bb.844:                              ;   in Loop: Header=BB4_754 Depth=3
	s_inst_prefetch 0x2
	s_or_b32 exec_lo, exec_lo, s74
.LBB4_845:                              ;   in Loop: Header=BB4_754 Depth=3
	s_or_b32 exec_lo, exec_lo, s73
	v_and_b32_e32 v9, 15, v40
	v_mov_b32_e32 v64, 0
	s_mov_b32 s17, 0
	s_mov_b32 s18, exec_lo
                                        ; implicit-def: $vgpr41
                                        ; implicit-def: $vgpr8
	v_cndmask_b32_e64 v65, v45, v9, s16
	v_cmpx_ne_u32_e32 0, v65
	s_cbranch_execz .LBB4_847
; %bb.846:                              ;   in Loop: Header=BB4_754 Depth=3
	v_cmp_lt_i32_e32 vcc_lo, 0, v46
	v_sub_nc_u32_e32 v9, v45, v9
	s_mov_b32 s17, exec_lo
	v_cndmask_b32_e32 v8, 0, v71, vcc_lo
	v_cndmask_b32_e64 v9, 0, v9, s16
	v_sub_nc_u32_e32 v8, v8, v46
	v_add3_u32 v64, v43, v42, v9
	v_lshl_add_u32 v41, v8, 5, v44
	v_ashrrev_i32_e32 v8, 31, v41
	v_lshrrev_b32_e32 v8, 27, v8
	v_add_nc_u32_e32 v8, v41, v8
	v_ashrrev_i32_e32 v8, 5, v8
.LBB4_847:                              ;   in Loop: Header=BB4_754 Depth=3
	s_or_b32 exec_lo, exec_lo, s18
	s_and_b32 s16, s17, exec_lo
.LBB4_848:                              ;   in Loop: Header=BB4_754 Depth=3
	s_or_b32 exec_lo, exec_lo, s19
	s_and_saveexec_b32 s22, s16
	s_cbranch_execz .LBB4_859
.LBB4_849:                              ;   in Loop: Header=BB4_754 Depth=3
	v_ashrrev_i32_e32 v9, 31, v65
	s_mov_b32 s17, exec_lo
	v_lshrrev_b32_e32 v9, 23, v9
	v_add_nc_u32_e32 v9, v65, v9
	v_ashrrev_i32_e32 v44, 9, v9
	v_ashrrev_i32_e32 v9, 31, v41
	v_sub_nc_u32_e32 v42, v44, v8
	v_lshrrev_b32_e32 v43, 27, v9
	v_cmpx_lt_i32_e32 0, v42
	s_cbranch_execz .LBB4_853
; %bb.850:                              ;   in Loop: Header=BB4_754 Depth=3
	v_add_nc_u32_e32 v9, v41, v43
	v_lshlrev_b32_e32 v8, 9, v8
	v_add_co_u32 v47, vcc_lo, 0x1e0, v49
	v_add_co_ci_u32_e64 v56, null, 0, v50, vcc_lo
	v_and_b32_e32 v9, 0xffffffe0, v9
	s_mov_b32 s18, 0
	v_sub_nc_u32_e32 v9, v41, v9
	v_add3_u32 v45, v64, v9, v8
	v_ashrrev_i32_e32 v46, 31, v45
	v_add_co_u32 v8, vcc_lo, v45, v51
	v_add_co_ci_u32_e64 v9, null, v46, v52, vcc_lo
	v_add_co_u32 v10, vcc_lo, v45, v53
	v_add_co_ci_u32_e64 v11, null, v46, v54, vcc_lo
	;; [unrolled: 2-line block ×3, first 2 shown]
.LBB4_851:                              ;   Parent Loop BB4_47 Depth=1
                                        ;     Parent Loop BB4_751 Depth=2
                                        ;       Parent Loop BB4_754 Depth=3
                                        ; =>      This Inner Loop Header: Depth=4
	v_add_co_u32 v45, vcc_lo, 0xfffffe20, v53
	v_add_co_ci_u32_e64 v46, null, -1, v54, vcc_lo
	v_add_co_u32 v56, vcc_lo, 0xfffffe40, v53
	v_add_co_ci_u32_e64 v57, null, -1, v54, vcc_lo
	;; [unrolled: 2-line block ×15, first 2 shown]
	flat_load_ubyte v47, v[53:54] slc
	flat_load_ubyte v45, v[45:46] slc
	;; [unrolled: 1-line block ×16, first 2 shown]
	v_sub_nc_u32_e32 v42, v42, v71
	v_add_co_u32 v53, vcc_lo, v53, v86
	v_add_co_ci_u32_e64 v54, null, 0, v54, vcc_lo
	v_cmp_gt_i32_e32 vcc_lo, 1, v42
	s_waitcnt vmcnt(15) lgkmcnt(15)
	flat_store_byte v[8:9], v47 offset:480 glc slc
	s_waitcnt vmcnt(14) lgkmcnt(15)
	flat_store_byte v[8:9], v45 glc slc
	s_waitcnt vmcnt(13) lgkmcnt(15)
	flat_store_byte v[8:9], v46 offset:32 glc slc
	s_waitcnt vmcnt(12) lgkmcnt(15)
	flat_store_byte v[8:9], v56 offset:64 glc slc
	;; [unrolled: 2-line block ×14, first 2 shown]
	flat_store_byte v[10:11], v45 glc slc
	flat_store_byte v[10:11], v46 offset:32 glc slc
	flat_store_byte v[10:11], v56 offset:64 glc slc
	;; [unrolled: 1-line block ×15, first 2 shown]
	v_add_co_u32 v8, s16, v8, v86
	v_add_co_ci_u32_e64 v9, null, 0, v9, s16
	v_add_co_u32 v10, s16, v10, v86
	v_add_co_ci_u32_e64 v11, null, 0, v11, s16
	s_or_b32 s18, vcc_lo, s18
	s_andn2_b32 exec_lo, exec_lo, s18
	s_cbranch_execnz .LBB4_851
; %bb.852:                              ;   in Loop: Header=BB4_754 Depth=3
	s_or_b32 exec_lo, exec_lo, s18
.LBB4_853:                              ;   in Loop: Header=BB4_754 Depth=3
	s_or_b32 exec_lo, exec_lo, s17
	v_lshlrev_b32_e32 v8, 9, v44
	v_cmp_ne_u32_e32 vcc_lo, v65, v8
	s_and_b32 exec_lo, exec_lo, vcc_lo
	s_cbranch_execz .LBB4_859
; %bb.854:                              ;   in Loop: Header=BB4_754 Depth=3
	v_add_nc_u32_e32 v9, v41, v43
	v_lshlrev_b32_e32 v10, 5, v42
	v_and_b32_e32 v9, 0xffffffe0, v9
	v_sub_nc_u32_e32 v9, v41, v9
	v_sub_nc_u32_e32 v9, v9, v10
	v_add_nc_u32_e32 v8, v8, v9
	v_sub_nc_u32_e32 v10, v65, v8
	v_cmp_lt_i32_e32 vcc_lo, 0, v10
	s_and_b32 exec_lo, exec_lo, vcc_lo
	s_cbranch_execz .LBB4_859
; %bb.855:                              ;   in Loop: Header=BB4_754 Depth=3
	s_trap 2
	ds_read_b64 v[53:54], v0
	ds_read_b128 v[41:44], v0
	v_add_nc_u32_e32 v64, v8, v64
	s_mov_b32 s23, 0
	v_ashrrev_i32_e32 v65, 31, v64
	s_waitcnt lgkmcnt(1)
	v_add_co_u32 v8, vcc_lo, v53, v64
	v_add_co_ci_u32_e64 v9, null, v54, v65, vcc_lo
	s_waitcnt lgkmcnt(0)
	v_add_co_u32 v11, vcc_lo, v41, v64
	v_add_co_ci_u32_e64 v53, null, v42, v65, vcc_lo
	v_add_co_u32 v54, vcc_lo, v43, v64
	v_add_co_ci_u32_e64 v64, null, v44, v65, vcc_lo
	s_inst_prefetch 0x1
	.p2align	6
.LBB4_856:                              ;   Parent Loop BB4_47 Depth=1
                                        ;     Parent Loop BB4_751 Depth=2
                                        ;       Parent Loop BB4_754 Depth=3
                                        ; =>      This Loop Header: Depth=4
                                        ;           Child Loop BB4_857 Depth 5
	flat_load_ubyte v65, v[8:9] slc
	s_mov_b64 s[18:19], 0
	s_mov_b32 s73, -1
	.p2align	6
.LBB4_857:                              ;   Parent Loop BB4_47 Depth=1
                                        ;     Parent Loop BB4_751 Depth=2
                                        ;       Parent Loop BB4_754 Depth=3
                                        ;         Parent Loop BB4_856 Depth=4
                                        ; =>        This Inner Loop Header: Depth=5
	s_cmp_eq_u32 s18, 1
	s_cselect_b32 vcc_lo, -1, 0
	s_cmp_eq_u32 s18, 0
	v_cndmask_b32_e32 v41, v11, v54, vcc_lo
	v_cndmask_b32_e32 v42, v53, v64, vcc_lo
	s_mov_b64 s[18:19], 1
	v_add_co_u32 v43, s16, v41, 32
	v_add_co_ci_u32_e64 v44, null, 0, v42, s16
	s_cselect_b32 s16, -1, 0
	v_cndmask_b32_e32 v54, v54, v43, vcc_lo
	v_cndmask_b32_e64 v11, v11, v43, s16
	v_cndmask_b32_e32 v64, v64, v44, vcc_lo
	v_cndmask_b32_e64 v53, v53, v44, s16
	s_and_b32 s17, exec_lo, s73
	s_mov_b32 s73, 0
	s_mov_b32 vcc_lo, s17
	s_waitcnt vmcnt(0) lgkmcnt(0)
	flat_store_byte v[41:42], v65 glc slc
	s_cbranch_vccnz .LBB4_857
; %bb.858:                              ;   in Loop: Header=BB4_856 Depth=4
	v_sub_nc_u32_e32 v10, v10, v80
	v_add_co_u32 v11, vcc_lo, v11, v96
	v_add_co_ci_u32_e64 v53, null, v53, v98, vcc_lo
	v_add_co_u32 v54, vcc_lo, v54, v96
	v_add_co_ci_u32_e64 v64, null, v64, v98, vcc_lo
	v_cmp_gt_i32_e32 vcc_lo, 1, v10
	v_add_co_u32 v8, s16, v102, v8
	v_add_co_ci_u32_e64 v9, null, v103, v9, s16
	s_or_b32 s23, vcc_lo, s23
	s_andn2_b32 exec_lo, exec_lo, s23
	s_cbranch_execnz .LBB4_856
.LBB4_859:                              ;   in Loop: Header=BB4_754 Depth=3
	s_inst_prefetch 0x2
	s_or_b32 exec_lo, exec_lo, s22
	s_mov_b32 s16, 0
.LBB4_860:                              ;   in Loop: Header=BB4_754 Depth=3
	s_and_b32 vcc_lo, exec_lo, s16
	s_cbranch_vccz .LBB4_889
; %bb.861:                              ;   in Loop: Header=BB4_754 Depth=3
	s_mov_b32 s16, -1
	s_and_saveexec_b32 s17, s14
	s_cbranch_execz .LBB4_863
; %bb.862:                              ;   in Loop: Header=BB4_754 Depth=3
	ds_read_b32 v8, v0 offset:720
	s_waitcnt lgkmcnt(0)
	v_and_b32_e32 v8, 15, v8
	v_cmp_eq_u32_e32 vcc_lo, 0, v8
	s_orn2_b32 s16, vcc_lo, exec_lo
.LBB4_863:                              ;   in Loop: Header=BB4_754 Depth=3
	s_or_b32 exec_lo, exec_lo, s17
	s_and_saveexec_b32 s17, s12
	s_cbranch_execz .LBB4_865
; %bb.864:                              ;   in Loop: Header=BB4_754 Depth=3
	ds_read_b32 v8, v0 offset:784
	s_waitcnt lgkmcnt(0)
	v_and_b32_e32 v8, 15, v8
	v_cmp_eq_u32_e32 vcc_lo, 0, v8
	s_and_b32 s18, s16, vcc_lo
	s_andn2_b32 s16, s16, exec_lo
	s_and_b32 s18, s18, exec_lo
	s_or_b32 s16, s16, s18
.LBB4_865:                              ;   in Loop: Header=BB4_754 Depth=3
	s_or_b32 exec_lo, exec_lo, s17
	s_xor_b32 s16, s16, -1
	v_mov_b32_e32 v10, 0
	v_cndmask_b32_e64 v8, 0, 1, s16
	v_mov_b32_e32 v9, v0
	v_mov_b32_e32 v41, v99
	s_mov_b32 s16, -1
	v_cmp_ne_u32_e32 vcc_lo, 0, v8
	v_mov_b32_e32 v8, v40
	s_cbranch_vccz .LBB4_867
; %bb.866:                              ;   in Loop: Header=BB4_754 Depth=3
	s_and_saveexec_b32 s17, s16
	s_cbranch_execnz .LBB4_880
	s_branch .LBB4_888
.LBB4_867:                              ;   in Loop: Header=BB4_754 Depth=3
	v_ashrrev_i32_e32 v8, 31, v40
	s_mov_b32 s17, exec_lo
	v_lshrrev_b32_e32 v8, 21, v8
	v_add_nc_u32_e32 v8, v40, v8
	v_ashrrev_i32_e32 v54, 11, v8
	v_sub_nc_u32_e32 v53, v54, v99
	v_cmpx_lt_i32_e32 0, v53
	s_cbranch_execz .LBB4_871
; %bb.868:                              ;   in Loop: Header=BB4_754 Depth=3
	v_mov_b32_e32 v8, v51
	v_mov_b32_e32 v10, v49
	;; [unrolled: 1-line block ×4, first 2 shown]
	s_mov_b32 s18, 0
	s_inst_prefetch 0x1
	.p2align	6
.LBB4_869:                              ;   Parent Loop BB4_47 Depth=1
                                        ;     Parent Loop BB4_751 Depth=2
                                        ;       Parent Loop BB4_754 Depth=3
                                        ; =>      This Inner Loop Header: Depth=4
	v_add_co_u32 v64, vcc_lo, v112, v10
	v_add_co_ci_u32_e64 v65, null, v116, v11, vcc_lo
	v_sub_nc_u32_e32 v53, v53, v71
	s_clause 0x3
	global_load_dwordx4 v[41:44], v[64:65], off slc
	global_load_dwordx4 v[56:59], v[64:65], off offset:512 slc
	global_load_dwordx4 v[60:63], v[64:65], off offset:1024 slc
	;; [unrolled: 1-line block ×3, first 2 shown]
	v_add_co_u32 v64, vcc_lo, v112, v8
	v_add_co_ci_u32_e64 v65, null, v116, v9, vcc_lo
	v_add_co_u32 v10, vcc_lo, v10, v85
	v_add_co_ci_u32_e64 v11, null, 0, v11, vcc_lo
	v_add_co_u32 v8, vcc_lo, v8, v85
	v_cmp_gt_i32_e64 s16, 1, v53
	v_add_co_ci_u32_e64 v9, null, 0, v9, vcc_lo
	s_waitcnt vmcnt(3)
	global_store_dwordx4 v[64:65], v[41:44], off glc slc
	s_waitcnt vmcnt(2)
	global_store_dwordx4 v[64:65], v[56:59], off offset:512 glc slc
	s_waitcnt vmcnt(1)
	global_store_dwordx4 v[64:65], v[60:63], off offset:1024 glc slc
	;; [unrolled: 2-line block ×3, first 2 shown]
	s_or_b32 s18, s16, s18
	s_andn2_b32 exec_lo, exec_lo, s18
	s_cbranch_execnz .LBB4_869
; %bb.870:                              ;   in Loop: Header=BB4_754 Depth=3
	s_inst_prefetch 0x2
	s_or_b32 exec_lo, exec_lo, s18
.LBB4_871:                              ;   in Loop: Header=BB4_754 Depth=3
	s_or_b32 exec_lo, exec_lo, s17
	v_lshlrev_b32_e32 v11, 11, v54
	v_mov_b32_e32 v10, 0
	s_mov_b32 s16, 0
	s_mov_b32 s18, exec_lo
                                        ; implicit-def: $vgpr8
                                        ; implicit-def: $vgpr9
                                        ; implicit-def: $vgpr41
	v_cmpx_ne_u32_e64 v40, v11
	s_cbranch_execz .LBB4_879
; %bb.872:                              ;   in Loop: Header=BB4_754 Depth=3
	v_lshlrev_b32_e32 v8, 5, v53
	v_sub_nc_u32_e32 v10, v40, v11
	s_mov_b32 s19, exec_lo
	v_sub_nc_u32_e32 v8, v101, v8
	v_ashrrev_i32_e32 v53, 31, v10
	v_ashrrev_i32_e32 v9, 31, v8
	v_lshrrev_b32_e32 v53, 23, v53
	v_lshrrev_b32_e32 v9, 27, v9
	v_add_nc_u32_e32 v65, v10, v53
	v_add_nc_u32_e32 v9, v8, v9
	v_and_b32_e32 v53, 0xfffffe00, v65
	v_ashrrev_i32_e32 v65, 9, v65
	v_and_b32_e32 v54, 0xffffffe0, v9
	v_sub_nc_u32_e32 v64, v10, v53
	v_ashrrev_i32_e32 v41, 5, v9
	v_sub_nc_u32_e32 v54, v8, v54
	v_cmp_lt_i32_e32 vcc_lo, 15, v64
	v_lshlrev_b32_e32 v8, 4, v54
	v_add_co_ci_u32_e64 v65, null, 0, v65, vcc_lo
	v_lshl_add_u32 v9, v41, 9, v8
	v_sub_nc_u32_e32 v65, v65, v41
	v_sub_nc_u32_e32 v8, v10, v9
	v_cmpx_lt_i32_e32 15, v8
	s_cbranch_execz .LBB4_876
; %bb.873:                              ;   in Loop: Header=BB4_754 Depth=3
	v_add_nc_u32_e32 v9, v9, v11
	s_mov_b32 s22, 0
	v_ashrrev_i32_e32 v10, 31, v9
	.p2align	6
.LBB4_874:                              ;   Parent Loop BB4_47 Depth=1
                                        ;     Parent Loop BB4_751 Depth=2
                                        ;       Parent Loop BB4_754 Depth=3
                                        ; =>      This Inner Loop Header: Depth=4
	v_add_co_u32 v41, s16, v49, v9
	v_add_co_ci_u32_e64 v42, null, v50, v10, s16
	v_sub_nc_u32_e32 v8, v8, v86
	v_add_co_u32 v45, s16, v51, v9
	global_load_dwordx4 v[41:44], v[41:42], off slc
	v_add_co_ci_u32_e64 v46, null, v52, v10, s16
	v_cmp_gt_i32_e64 s16, 16, v8
	v_add_co_u32 v9, s17, v9, v86
	v_sub_nc_u32_e32 v65, v65, v71
	v_add_co_ci_u32_e64 v10, null, 0, v10, s17
	s_or_b32 s22, s16, s22
	s_waitcnt vmcnt(0)
	global_store_dwordx4 v[45:46], v[41:44], off glc slc
	s_andn2_b32 exec_lo, exec_lo, s22
	s_cbranch_execnz .LBB4_874
; %bb.875:                              ;   in Loop: Header=BB4_754 Depth=3
	s_or_b32 exec_lo, exec_lo, s22
.LBB4_876:                              ;   in Loop: Header=BB4_754 Depth=3
	s_or_b32 exec_lo, exec_lo, s19
	v_and_b32_e32 v42, 15, v40
	v_mov_b32_e32 v10, 0
	s_mov_b32 s17, 0
	s_mov_b32 s19, exec_lo
                                        ; implicit-def: $vgpr9
                                        ; implicit-def: $vgpr41
	v_cndmask_b32_e32 v8, v64, v42, vcc_lo
	v_cmpx_ne_u32_e32 0, v8
	s_cbranch_execz .LBB4_878
; %bb.877:                              ;   in Loop: Header=BB4_754 Depth=3
	v_cmp_lt_i32_e64 s16, 0, v65
	s_mov_b32 s17, exec_lo
	v_cndmask_b32_e64 v9, 0, v71, s16
	v_sub_nc_u32_e32 v9, v9, v65
	v_lshl_add_u32 v9, v9, 5, v54
	v_sub_nc_u32_e32 v54, v64, v42
	v_ashrrev_i32_e32 v10, 31, v9
	v_cndmask_b32_e32 v54, 0, v54, vcc_lo
	v_lshrrev_b32_e32 v10, 27, v10
	v_add_nc_u32_e32 v64, v9, v10
	v_add3_u32 v10, v53, v11, v54
	v_ashrrev_i32_e32 v41, 5, v64
.LBB4_878:                              ;   in Loop: Header=BB4_754 Depth=3
	s_or_b32 exec_lo, exec_lo, s19
	s_and_b32 s16, s17, exec_lo
.LBB4_879:                              ;   in Loop: Header=BB4_754 Depth=3
	s_or_b32 exec_lo, exec_lo, s18
	s_and_saveexec_b32 s17, s16
	s_cbranch_execz .LBB4_888
.LBB4_880:                              ;   in Loop: Header=BB4_754 Depth=3
	v_ashrrev_i32_e32 v11, 31, v8
	s_mov_b32 s16, exec_lo
	v_lshrrev_b32_e32 v11, 23, v11
	v_add_nc_u32_e32 v11, v8, v11
	v_ashrrev_i32_e32 v53, 9, v11
	v_sub_nc_u32_e32 v11, v53, v41
	v_cmpx_lt_i32_e32 0, v11
	s_cbranch_execz .LBB4_884
; %bb.881:                              ;   in Loop: Header=BB4_754 Depth=3
	v_ashrrev_i32_e32 v54, 31, v9
	v_lshlrev_b32_e32 v64, 9, v41
	s_mov_b32 s18, 0
	v_lshrrev_b32_e32 v54, 27, v54
	v_add_nc_u32_e32 v54, v9, v54
	v_and_b32_e32 v54, 0xffffffe0, v54
	v_sub_nc_u32_e32 v54, v9, v54
	v_add3_u32 v54, v10, v54, v64
	v_ashrrev_i32_e32 v64, 31, v54
.LBB4_882:                              ;   Parent Loop BB4_47 Depth=1
                                        ;     Parent Loop BB4_751 Depth=2
                                        ;       Parent Loop BB4_754 Depth=3
                                        ; =>      This Inner Loop Header: Depth=4
	v_add_co_u32 v41, vcc_lo, v54, v49
	v_add_co_ci_u32_e64 v42, null, v64, v50, vcc_lo
	v_sub_nc_u32_e32 v11, v11, v71
	s_clause 0xf
	flat_load_ubyte v65, v[41:42] slc
	flat_load_ubyte v43, v[41:42] offset:32 slc
	flat_load_ubyte v44, v[41:42] offset:64 slc
	;; [unrolled: 1-line block ×15, first 2 shown]
	v_add_co_u32 v41, vcc_lo, v54, v51
	v_add_co_ci_u32_e64 v42, null, v64, v52, vcc_lo
	v_add_co_u32 v49, vcc_lo, v49, v86
	v_add_co_ci_u32_e64 v50, null, 0, v50, vcc_lo
	;; [unrolled: 2-line block ×3, first 2 shown]
	v_cmp_gt_i32_e32 vcc_lo, 1, v11
	s_waitcnt vmcnt(15) lgkmcnt(15)
	flat_store_byte v[41:42], v65 glc slc
	s_waitcnt vmcnt(14) lgkmcnt(15)
	flat_store_byte v[41:42], v43 offset:32 glc slc
	s_waitcnt vmcnt(13) lgkmcnt(15)
	flat_store_byte v[41:42], v44 offset:64 glc slc
	;; [unrolled: 2-line block ×15, first 2 shown]
	s_or_b32 s18, vcc_lo, s18
	s_andn2_b32 exec_lo, exec_lo, s18
	s_cbranch_execnz .LBB4_882
; %bb.883:                              ;   in Loop: Header=BB4_754 Depth=3
	s_or_b32 exec_lo, exec_lo, s18
.LBB4_884:                              ;   in Loop: Header=BB4_754 Depth=3
	s_or_b32 exec_lo, exec_lo, s16
	v_lshlrev_b32_e32 v49, 9, v53
	v_cmp_ne_u32_e32 vcc_lo, v8, v49
	s_and_b32 exec_lo, exec_lo, vcc_lo
	s_cbranch_execz .LBB4_888
; %bb.885:                              ;   in Loop: Header=BB4_754 Depth=3
	v_ashrrev_i32_e32 v50, 31, v9
	v_lshlrev_b32_e32 v11, 5, v11
	v_lshrrev_b32_e32 v50, 27, v50
	v_add_nc_u32_e32 v50, v9, v50
	v_and_b32_e32 v50, 0xffffffe0, v50
	v_sub_nc_u32_e32 v9, v9, v50
	v_sub_nc_u32_e32 v9, v9, v11
	v_add_nc_u32_e32 v49, v49, v9
	v_sub_nc_u32_e32 v11, v8, v49
	v_cmp_lt_i32_e32 vcc_lo, 0, v11
	s_and_b32 exec_lo, exec_lo, vcc_lo
	s_cbranch_execz .LBB4_888
; %bb.886:                              ;   in Loop: Header=BB4_754 Depth=3
	s_trap 2
	ds_read_b64 v[8:9], v0
	v_add_nc_u32_e32 v10, v49, v10
	s_mov_b32 s18, 0
	v_ashrrev_i32_e32 v49, 31, v10
	.p2align	6
.LBB4_887:                              ;   Parent Loop BB4_47 Depth=1
                                        ;     Parent Loop BB4_751 Depth=2
                                        ;       Parent Loop BB4_754 Depth=3
                                        ; =>      This Inner Loop Header: Depth=4
	s_waitcnt lgkmcnt(0)
	v_add_co_u32 v50, vcc_lo, v8, v10
	v_add_co_ci_u32_e64 v51, null, v9, v49, vcc_lo
	v_sub_nc_u32_e32 v11, v11, v80
	v_add_co_u32 v10, s16, v10, v80
	flat_load_ubyte v52, v[50:51] slc
	v_add_co_ci_u32_e64 v49, null, 0, v49, s16
	v_cmp_gt_i32_e32 vcc_lo, 1, v11
	s_or_b32 s18, vcc_lo, s18
	s_waitcnt vmcnt(0) lgkmcnt(0)
	flat_store_byte v[50:51], v52 glc slc
	s_andn2_b32 exec_lo, exec_lo, s18
	s_cbranch_execnz .LBB4_887
.LBB4_888:                              ;   in Loop: Header=BB4_754 Depth=3
	s_or_b32 exec_lo, exec_lo, s17
.LBB4_889:                              ;   in Loop: Header=BB4_754 Depth=3
	v_cmp_lt_i32_e64 s16, 0, v40
	s_and_saveexec_b32 s17, s6
	s_cbranch_execz .LBB4_830
.LBB4_890:                              ;   in Loop: Header=BB4_754 Depth=3
	s_and_saveexec_b32 s18, s29
	s_xor_b32 s18, exec_lo, s18
	s_cbranch_execz .LBB4_905
; %bb.891:                              ;   in Loop: Header=BB4_754 Depth=3
	s_and_saveexec_b32 s19, s11
	s_cbranch_execz .LBB4_904
; %bb.892:                              ;   in Loop: Header=BB4_754 Depth=3
	s_mov_b32 s23, exec_lo
	s_mov_b32 s22, exec_lo
	v_mbcnt_lo_u32_b32 v8, s23, 0
	s_waitcnt vmcnt(0) lgkmcnt(0)
	s_waitcnt_vscnt null, 0x0
	buffer_gl1_inv
	buffer_gl0_inv
	v_cmpx_eq_u32_e32 0, v8
	s_cbranch_execz .LBB4_894
; %bb.893:                              ;   in Loop: Header=BB4_754 Depth=3
	s_bcnt1_i32_b32 s23, s23
	v_mov_b32_e32 v9, v2
	v_mov_b32_e32 v8, s23
	ds_add_u64 v0, v[8:9]
	s_trap 2
.LBB4_894:                              ;   in Loop: Header=BB4_754 Depth=3
	s_or_b32 exec_lo, exec_lo, s22
	s_trap 2
	ds_read_b64 v[8:9], v0
	s_waitcnt lgkmcnt(0)
	buffer_gl0_inv
	v_add_co_u32 v12, vcc_lo, v12, v71
	v_add_co_ci_u32_e64 v13, null, 0, v13, vcc_lo
	s_mov_b32 s22, exec_lo
	v_cmpx_lt_u64_e64 v[8:9], v[12:13]
	s_cbranch_execz .LBB4_903
; %bb.895:                              ;   in Loop: Header=BB4_754 Depth=3
	s_mov_b32 s23, 0
	s_mov_b32 s75, 0
                                        ; implicit-def: $sgpr73
                                        ; implicit-def: $sgpr74
	s_inst_prefetch 0x1
	s_branch .LBB4_897
	.p2align	6
.LBB4_896:                              ;   in Loop: Header=BB4_897 Depth=4
	s_or_b32 exec_lo, exec_lo, s77
	s_and_b32 s76, exec_lo, s78
	s_or_b32 s23, s76, s23
	s_andn2_b32 s73, s73, exec_lo
	s_and_b32 s76, s74, exec_lo
	s_or_b32 s73, s73, s76
	s_andn2_b32 exec_lo, exec_lo, s23
	s_cbranch_execz .LBB4_901
.LBB4_897:                              ;   Parent Loop BB4_47 Depth=1
                                        ;     Parent Loop BB4_751 Depth=2
                                        ;       Parent Loop BB4_754 Depth=3
                                        ; =>      This Inner Loop Header: Depth=4
	s_add_i32 s75, s75, 1
	s_cmpk_lg_i32 s75, 0x2710
	s_cselect_b32 s76, -1, 0
	s_and_b32 vcc_lo, exec_lo, s76
	s_cbranch_vccz .LBB4_899
; %bb.898:                              ;   in Loop: Header=BB4_897 Depth=4
	s_mov_b32 s78, -1
	s_or_b32 s74, s74, exec_lo
	s_and_saveexec_b32 s77, s76
	s_cbranch_execz .LBB4_896
	s_branch .LBB4_900
	.p2align	6
.LBB4_899:                              ;   in Loop: Header=BB4_897 Depth=4
	s_trap 2
	ds_read_b64 v[8:9], v0
	s_andn2_b32 s76, s76, exec_lo
	s_mov_b32 s75, 0
	s_waitcnt lgkmcnt(0)
	flat_load_dword v8, v[8:9] glc dlc
	s_waitcnt vmcnt(0) lgkmcnt(0)
	buffer_gl1_inv
	buffer_gl0_inv
	v_cmp_eq_u32_e32 vcc_lo, 0, v8
	s_and_b32 s77, vcc_lo, exec_lo
	s_or_b32 s76, s76, s77
	s_mov_b32 s78, -1
	s_or_b32 s74, s74, exec_lo
	s_and_saveexec_b32 s77, s76
	s_cbranch_execz .LBB4_896
.LBB4_900:                              ;   in Loop: Header=BB4_897 Depth=4
	s_sleep 1
	s_trap 2
	ds_read_b64 v[8:9], v0
	s_waitcnt lgkmcnt(0)
	buffer_gl0_inv
	s_andn2_b32 s74, s74, exec_lo
	v_cmp_ge_u64_e32 vcc_lo, v[8:9], v[12:13]
	s_orn2_b32 s78, vcc_lo, exec_lo
	s_branch .LBB4_896
.LBB4_901:                              ;   in Loop: Header=BB4_754 Depth=3
	s_inst_prefetch 0x2
	s_or_b32 exec_lo, exec_lo, s23
	s_and_saveexec_b32 s23, s73
	s_xor_b32 s23, exec_lo, s23
	s_cbranch_execz .LBB4_903
; %bb.902:                              ;   in Loop: Header=BB4_754 Depth=3
	ds_write_b32 v0, v81
	s_trap 2
.LBB4_903:                              ;   in Loop: Header=BB4_754 Depth=3
	s_or_b32 exec_lo, exec_lo, s22
	;;#ASMSTART
	s_wakeup
	;;#ASMEND
.LBB4_904:                              ;   in Loop: Header=BB4_754 Depth=3
	s_or_b32 exec_lo, exec_lo, s19
.LBB4_905:                              ;   in Loop: Header=BB4_754 Depth=3
	s_andn2_saveexec_b32 s18, s18
	s_cbranch_execz .LBB4_907
; %bb.906:                              ;   in Loop: Header=BB4_754 Depth=3
	s_waitcnt vmcnt(0) lgkmcnt(0)
	s_waitcnt_vscnt null, 0x0
	buffer_gl1_inv
	buffer_gl0_inv
	s_barrier
.LBB4_907:                              ;   in Loop: Header=BB4_754 Depth=3
	s_or_b32 exec_lo, exec_lo, s18
	s_or_b32 exec_lo, exec_lo, s17
                                        ; implicit-def: $vgpr8
	s_and_saveexec_b32 s17, s13
	s_xor_b32 s17, exec_lo, s17
	s_cbranch_execnz .LBB4_831
.LBB4_908:                              ;   in Loop: Header=BB4_754 Depth=3
	s_andn2_saveexec_b32 s16, s17
	s_cbranch_execz .LBB4_927
.LBB4_909:                              ;   in Loop: Header=BB4_754 Depth=3
	s_and_saveexec_b32 s17, s29
	s_xor_b32 s17, exec_lo, s17
	s_cbranch_execz .LBB4_924
; %bb.910:                              ;   in Loop: Header=BB4_754 Depth=3
	s_and_saveexec_b32 s18, s11
	s_cbranch_execz .LBB4_923
; %bb.911:                              ;   in Loop: Header=BB4_754 Depth=3
	s_mov_b32 s22, exec_lo
	s_mov_b32 s19, exec_lo
	v_mbcnt_lo_u32_b32 v8, s22, 0
	;;#ASMSTART
	s_waitcnt lgkmcnt(0) vmcnt(0)
	;;#ASMEND
	v_cmpx_eq_u32_e32 0, v8
	s_cbranch_execz .LBB4_913
; %bb.912:                              ;   in Loop: Header=BB4_754 Depth=3
	s_bcnt1_i32_b32 s22, s22
	v_mov_b32_e32 v9, v2
	v_mov_b32_e32 v8, s22
	s_waitcnt vmcnt(0) lgkmcnt(0)
	s_waitcnt_vscnt null, 0x0
	ds_add_u64 v0, v[8:9]
	s_trap 2
.LBB4_913:                              ;   in Loop: Header=BB4_754 Depth=3
	s_or_b32 exec_lo, exec_lo, s19
	s_trap 2
	ds_read_b64 v[8:9], v0
	s_waitcnt vmcnt(0) lgkmcnt(0)
	buffer_gl0_inv
	v_add_co_u32 v12, vcc_lo, v12, v71
	v_add_co_ci_u32_e64 v13, null, 0, v13, vcc_lo
	s_mov_b32 s19, exec_lo
	v_cmpx_lt_u64_e64 v[8:9], v[12:13]
	s_cbranch_execz .LBB4_922
; %bb.914:                              ;   in Loop: Header=BB4_754 Depth=3
	s_mov_b32 s22, 0
	s_mov_b32 s74, 0
                                        ; implicit-def: $sgpr23
                                        ; implicit-def: $sgpr73
	s_inst_prefetch 0x1
	s_branch .LBB4_916
	.p2align	6
.LBB4_915:                              ;   in Loop: Header=BB4_916 Depth=4
	s_or_b32 exec_lo, exec_lo, s76
	s_and_b32 s75, exec_lo, s77
	s_or_b32 s22, s75, s22
	s_andn2_b32 s23, s23, exec_lo
	s_and_b32 s75, s73, exec_lo
	s_or_b32 s23, s23, s75
	s_andn2_b32 exec_lo, exec_lo, s22
	s_cbranch_execz .LBB4_920
.LBB4_916:                              ;   Parent Loop BB4_47 Depth=1
                                        ;     Parent Loop BB4_751 Depth=2
                                        ;       Parent Loop BB4_754 Depth=3
                                        ; =>      This Inner Loop Header: Depth=4
	s_add_i32 s74, s74, 1
	s_cmpk_lg_i32 s74, 0x2710
	s_cselect_b32 s75, -1, 0
	s_and_b32 vcc_lo, exec_lo, s75
	s_cbranch_vccz .LBB4_918
; %bb.917:                              ;   in Loop: Header=BB4_916 Depth=4
	s_mov_b32 s77, -1
	s_or_b32 s73, s73, exec_lo
	s_and_saveexec_b32 s76, s75
	s_cbranch_execz .LBB4_915
	s_branch .LBB4_919
	.p2align	6
.LBB4_918:                              ;   in Loop: Header=BB4_916 Depth=4
	s_trap 2
	ds_read_b64 v[8:9], v0
	s_andn2_b32 s75, s75, exec_lo
	s_mov_b32 s74, 0
	s_waitcnt lgkmcnt(0)
	s_waitcnt_vscnt null, 0x0
	flat_load_dword v8, v[8:9] glc dlc
	s_waitcnt vmcnt(0) lgkmcnt(0)
	buffer_gl1_inv
	buffer_gl0_inv
	v_cmp_eq_u32_e32 vcc_lo, 0, v8
	s_and_b32 s76, vcc_lo, exec_lo
	s_or_b32 s75, s75, s76
	s_mov_b32 s77, -1
	s_or_b32 s73, s73, exec_lo
	s_and_saveexec_b32 s76, s75
	s_cbranch_execz .LBB4_915
.LBB4_919:                              ;   in Loop: Header=BB4_916 Depth=4
	s_sleep 1
	s_trap 2
	ds_read_b64 v[8:9], v0
	s_waitcnt lgkmcnt(0)
	buffer_gl0_inv
	s_andn2_b32 s73, s73, exec_lo
	v_cmp_ge_u64_e32 vcc_lo, v[8:9], v[12:13]
	s_orn2_b32 s77, vcc_lo, exec_lo
	s_branch .LBB4_915
.LBB4_920:                              ;   in Loop: Header=BB4_754 Depth=3
	s_inst_prefetch 0x2
	s_or_b32 exec_lo, exec_lo, s22
	s_and_saveexec_b32 s22, s23
	s_xor_b32 s22, exec_lo, s22
	s_cbranch_execz .LBB4_922
; %bb.921:                              ;   in Loop: Header=BB4_754 Depth=3
	ds_write_b32 v0, v81
	s_trap 2
.LBB4_922:                              ;   in Loop: Header=BB4_754 Depth=3
	s_or_b32 exec_lo, exec_lo, s19
	;;#ASMSTART
	s_wakeup
	;;#ASMEND
.LBB4_923:                              ;   in Loop: Header=BB4_754 Depth=3
	s_or_b32 exec_lo, exec_lo, s18
.LBB4_924:                              ;   in Loop: Header=BB4_754 Depth=3
	s_andn2_saveexec_b32 s17, s17
	s_cbranch_execz .LBB4_926
; %bb.925:                              ;   in Loop: Header=BB4_754 Depth=3
	;;#ASMSTART
	s_waitcnt lgkmcnt(0) vmcnt(0)
	;;#ASMEND
	s_barrier
.LBB4_926:                              ;   in Loop: Header=BB4_754 Depth=3
	s_or_b32 exec_lo, exec_lo, s17
	v_and_b32_e32 v8, 16, v69
.LBB4_927:                              ;   in Loop: Header=BB4_754 Depth=3
	s_or_b32 exec_lo, exec_lo, s16
	v_cmp_ne_u32_e32 vcc_lo, 0, v8
	s_xor_b32 s16, s7, -1
	s_and_b32 s17, vcc_lo, s16
	s_and_saveexec_b32 s16, s17
	s_cbranch_execz .LBB4_929
; %bb.928:                              ;   in Loop: Header=BB4_754 Depth=3
	s_waitcnt vmcnt(0) lgkmcnt(0)
	s_waitcnt_vscnt null, 0x0
	flat_store_dword v[24:25], v81
.LBB4_929:                              ;   in Loop: Header=BB4_754 Depth=3
	s_or_b32 exec_lo, exec_lo, s16
	v_and_b32_e32 v8, 48, v69
	s_mov_b32 s16, exec_lo
	v_cmpx_ne_u32_e32 0, v8
	s_cbranch_execz .LBB4_753
; %bb.930:                              ;   in Loop: Header=BB4_754 Depth=3
	v_add_co_u32 v36, vcc_lo, v36, 2
	v_add_co_ci_u32_e64 v37, null, 0, v37, vcc_lo
	s_waitcnt vmcnt(0) lgkmcnt(0)
	s_waitcnt_vscnt null, 0x0
	flat_store_dwordx2 v[20:21], v[36:37]
	s_branch .LBB4_753
.LBB4_931:                              ;   in Loop: Header=BB4_751 Depth=2
	s_or_b32 exec_lo, exec_lo, s62
.LBB4_932:                              ;   in Loop: Header=BB4_751 Depth=2
	s_or_b32 exec_lo, exec_lo, s61
	s_mov_b32 s17, exec_lo
	v_cmpx_gt_i32_e32 2, v10
	s_cbranch_execz .LBB4_1008
; %bb.933:                              ;   in Loop: Header=BB4_751 Depth=2
	v_cmp_eq_u32_e64 s19, 0, v10
	s_mov_b32 s18, 0
	s_branch .LBB4_935
.LBB4_934:                              ;   in Loop: Header=BB4_935 Depth=3
	s_or_b32 exec_lo, exec_lo, s16
	v_add_nc_u32_e32 v55, v48, v55
	s_mov_b32 s19, 0
	s_andn2_b32 exec_lo, exec_lo, s18
	s_cbranch_execz .LBB4_1007
.LBB4_935:                              ;   Parent Loop BB4_47 Depth=1
                                        ;     Parent Loop BB4_751 Depth=2
                                        ; =>    This Loop Header: Depth=3
                                        ;         Child Loop BB4_941 Depth 4
                                        ;         Child Loop BB4_969 Depth 4
	;; [unrolled: 1-line block ×3, first 2 shown]
	v_sub_nc_u32_e32 v8, v3, v55
	v_and_b32_e32 v9, 12, v69
	s_mov_b32 s22, exec_lo
	v_min_i32_e32 v48, v48, v8
	v_cmpx_ne_u32_e32 0, v9
	s_cbranch_execz .LBB4_961
; %bb.936:                              ;   in Loop: Header=BB4_935 Depth=3
	v_and_b32_e32 v51, 8, v69
	s_mov_b32 s23, exec_lo
	s_waitcnt vmcnt(0) lgkmcnt(1)
	v_add_co_u32 v10, vcc_lo, v26, v51
	v_add_co_ci_u32_e64 v11, null, 0, v27, vcc_lo
	v_add_co_u32 v8, vcc_lo, v36, 2
	v_add_co_ci_u32_e64 v9, null, 0, v37, vcc_lo
	v_cmpx_lt_u64_e64 v[10:11], v[8:9]
	s_cbranch_execz .LBB4_948
; %bb.937:                              ;   in Loop: Header=BB4_935 Depth=3
	v_and_b32_e32 v10, 64, v69
	s_mov_b32 s61, 0
	s_mov_b32 s73, 0
                                        ; implicit-def: $sgpr62
                                        ; implicit-def: $sgpr63
                                        ; implicit-def: $sgpr72
	v_cmp_eq_u32_e32 vcc_lo, 0, v10
	s_branch .LBB4_941
.LBB4_938:                              ;   in Loop: Header=BB4_941 Depth=4
	s_waitcnt vmcnt(0) lgkmcnt(0)
	v_add_co_u32 v49, s16, v26, v51
	v_add_co_ci_u32_e64 v50, null, 0, v27, s16
	s_or_b32 s76, s76, exec_lo
	v_cmp_ge_u64_e64 s16, v[49:50], v[8:9]
	s_orn2_b32 s75, s16, exec_lo
.LBB4_939:                              ;   in Loop: Header=BB4_941 Depth=4
	s_or_b32 exec_lo, exec_lo, s78
	s_andn2_b32 s16, s72, exec_lo
	s_and_b32 s72, s76, exec_lo
	s_andn2_b32 s63, s63, exec_lo
	s_and_b32 s75, s75, exec_lo
	s_or_b32 s72, s16, s72
	s_or_b32 s63, s63, s75
.LBB4_940:                              ;   in Loop: Header=BB4_941 Depth=4
	s_or_b32 exec_lo, exec_lo, s74
	s_and_b32 s16, exec_lo, s63
	s_or_b32 s61, s16, s61
	s_andn2_b32 s16, s62, exec_lo
	s_and_b32 s62, s72, exec_lo
	s_or_b32 s62, s16, s62
	s_andn2_b32 exec_lo, exec_lo, s61
	s_cbranch_execz .LBB4_945
.LBB4_941:                              ;   Parent Loop BB4_47 Depth=1
                                        ;     Parent Loop BB4_751 Depth=2
                                        ;       Parent Loop BB4_935 Depth=3
                                        ; =>      This Inner Loop Header: Depth=4
	s_sleep 1
	s_waitcnt vmcnt(0) lgkmcnt(0)
	flat_load_dwordx2 v[26:27], v[20:21] glc dlc
	s_or_b32 s72, s72, exec_lo
	s_or_b32 s63, s63, exec_lo
                                        ; implicit-def: $vgpr10
	s_and_saveexec_b32 s74, vcc_lo
	s_cbranch_execz .LBB4_940
; %bb.942:                              ;   in Loop: Header=BB4_941 Depth=4
	s_cmpk_lt_i32 s73, 0x270f
	s_mov_b32 s75, -1
	s_cselect_b32 s77, -1, 0
	s_cmpk_gt_i32 s73, 0x270e
	s_cbranch_scc0 .LBB4_944
; %bb.943:                              ;   in Loop: Header=BB4_941 Depth=4
	s_trap 2
	ds_read_b64 v[10:11], v0
	s_andn2_b32 s73, s77, exec_lo
	s_mov_b32 s76, 0
	s_waitcnt vmcnt(0) lgkmcnt(0)
	s_waitcnt_vscnt null, 0x0
	flat_load_dword v10, v[10:11] glc dlc
	s_waitcnt vmcnt(0) lgkmcnt(0)
	buffer_gl1_inv
	buffer_gl0_inv
	v_cmp_eq_u32_e64 s16, 0, v10
	s_and_b32 s16, s16, exec_lo
	s_or_b32 s77, s73, s16
	s_mov_b32 s73, 0
	s_and_saveexec_b32 s78, s77
	s_cbranch_execz .LBB4_939
	s_branch .LBB4_938
.LBB4_944:                              ;   in Loop: Header=BB4_941 Depth=4
	s_add_i32 s73, s73, 1
	s_mov_b32 s76, -1
                                        ; implicit-def: $vgpr10
	s_and_saveexec_b32 s78, s77
	s_cbranch_execz .LBB4_939
	s_branch .LBB4_938
.LBB4_945:                              ;   in Loop: Header=BB4_935 Depth=3
	s_or_b32 exec_lo, exec_lo, s61
	s_xor_b32 s16, s62, -1
	s_and_saveexec_b32 s61, s16
	s_xor_b32 s16, exec_lo, s61
	s_cbranch_execz .LBB4_947
; %bb.946:                              ;   in Loop: Header=BB4_935 Depth=3
	v_or_b32_e32 v69, 64, v69
	s_waitcnt vmcnt(0) lgkmcnt(0)
	s_waitcnt_vscnt null, 0x0
	ds_write_b32 v0, v10
	s_trap 2
.LBB4_947:                              ;   in Loop: Header=BB4_935 Depth=3
	s_or_b32 exec_lo, exec_lo, s16
.LBB4_948:                              ;   in Loop: Header=BB4_935 Depth=3
	s_or_b32 exec_lo, exec_lo, s23
	v_and_b32_e32 v10, 0x108, v69
	;;#ASMSTART
	s_wakeup
	;;#ASMEND
	v_cmp_ne_u32_e32 vcc_lo, 0x108, v10
                                        ; implicit-def: $vgpr10_vgpr11
	s_and_saveexec_b32 s16, vcc_lo
	s_xor_b32 s16, exec_lo, s16
; %bb.949:                              ;   in Loop: Header=BB4_935 Depth=3
	v_and_b32_e32 v10, 7, v36
	v_mov_b32_e32 v11, v2
                                        ; implicit-def: $vgpr36_vgpr37
; %bb.950:                              ;   in Loop: Header=BB4_935 Depth=3
	s_andn2_saveexec_b32 s16, s16
	s_cbranch_execz .LBB4_952
; %bb.951:                              ;   in Loop: Header=BB4_935 Depth=3
	v_and_b32_e32 v10, 7, v36
	v_ashrrev_i32_e32 v49, 31, v48
	v_mov_b32_e32 v11, v2
	v_mad_u64_u32 v[36:37], null, v10, 24, v[6:7]
	flat_store_dwordx2 v[36:37], v[48:49] offset:8
.LBB4_952:                              ;   in Loop: Header=BB4_935 Depth=3
	s_or_b32 exec_lo, exec_lo, s16
	v_and_b32_e32 v36, 0x100, v69
	s_mov_b32 s16, -1
	v_cmp_ne_u32_e32 vcc_lo, 0, v36
                                        ; implicit-def: $vgpr36_vgpr37
	s_and_saveexec_b32 s23, vcc_lo
	s_cbranch_execz .LBB4_956
; %bb.953:                              ;   in Loop: Header=BB4_935 Depth=3
	v_mad_u64_u32 v[49:50], null, v10, 24, v[6:7]
	v_mov_b32_e32 v36, v50
	v_mad_u64_u32 v[36:37], null, v11, 24, v[36:37]
	v_mov_b32_e32 v50, v36
	flat_load_dword v36, v[49:50]
	s_waitcnt vmcnt(0) lgkmcnt(0)
	v_cmp_eq_u32_e64 s16, 1, v36
	v_cmp_ne_u32_e32 vcc_lo, 1, v36
                                        ; implicit-def: $vgpr36_vgpr37
	s_and_saveexec_b32 s61, s16
	s_cbranch_execz .LBB4_955
; %bb.954:                              ;   in Loop: Header=BB4_935 Depth=3
	flat_load_dword v36, v[49:50] offset:4 glc dlc
	s_waitcnt vmcnt(0) lgkmcnt(0)
	v_ashrrev_i32_e32 v37, 31, v36
.LBB4_955:                              ;   in Loop: Header=BB4_935 Depth=3
	s_or_b32 exec_lo, exec_lo, s61
	s_orn2_b32 s16, vcc_lo, exec_lo
.LBB4_956:                              ;   in Loop: Header=BB4_935 Depth=3
	s_or_b32 exec_lo, exec_lo, s23
	s_and_saveexec_b32 s23, s16
; %bb.957:                              ;   in Loop: Header=BB4_935 Depth=3
	v_mul_lo_u32 v11, v11, v70
	v_mul_lo_u32 v49, v10, v30
	v_mad_u64_u32 v[36:37], null, v10, v70, 0
	v_add3_u32 v37, v37, v49, v11
; %bb.958:                              ;   in Loop: Header=BB4_935 Depth=3
	s_or_b32 exec_lo, exec_lo, s23
	v_cmp_eq_u32_e32 vcc_lo, 0, v51
	v_and_b32_e32 v50, 0x2000, v69
	s_mov_b32 s16, exec_lo
	v_cndmask_b32_e32 v49, 0xd0, v84, vcc_lo
	v_add_co_u32 v10, vcc_lo, v22, v36
	v_add_co_ci_u32_e64 v11, null, v23, v37, vcc_lo
	v_add_nc_u32_e32 v36, v0, v49
	ds_write_b64 v36, v[10:11] offset:584
	v_cmpx_ne_u32_e32 0, v50
	s_cbranch_execz .LBB4_960
; %bb.959:                              ;   in Loop: Header=BB4_935 Depth=3
	ds_read_b64 v[10:11], v0 offset:872
	s_waitcnt lgkmcnt(0)
	v_add_co_u32 v10, vcc_lo, v10, 1
	v_add_co_ci_u32_e64 v11, null, 0, v11, vcc_lo
	ds_write_b64 v0, v[10:11] offset:872
.LBB4_960:                              ;   in Loop: Header=BB4_935 Depth=3
	s_or_b32 exec_lo, exec_lo, s16
	v_mov_b32_e32 v37, v9
	v_mov_b32_e32 v36, v8
.LBB4_961:                              ;   in Loop: Header=BB4_935 Depth=3
	s_or_b32 exec_lo, exec_lo, s22
	s_xor_b32 s16, s19, -1
	s_and_b32 s16, exec_lo, s16
	s_or_b32 s18, s16, s18
	s_and_saveexec_b32 s16, s6
	s_cbranch_execz .LBB4_980
; %bb.962:                              ;   in Loop: Header=BB4_935 Depth=3
	s_and_saveexec_b32 s19, s29
	s_xor_b32 s19, exec_lo, s19
	s_cbranch_execz .LBB4_977
; %bb.963:                              ;   in Loop: Header=BB4_935 Depth=3
	s_and_saveexec_b32 s22, s11
	s_cbranch_execz .LBB4_976
; %bb.964:                              ;   in Loop: Header=BB4_935 Depth=3
	s_mov_b32 s61, exec_lo
	s_mov_b32 s23, exec_lo
	v_mbcnt_lo_u32_b32 v8, s61, 0
	s_waitcnt vmcnt(0) lgkmcnt(0)
	s_waitcnt_vscnt null, 0x0
	buffer_gl1_inv
	buffer_gl0_inv
	v_cmpx_eq_u32_e32 0, v8
	s_cbranch_execz .LBB4_966
; %bb.965:                              ;   in Loop: Header=BB4_935 Depth=3
	s_bcnt1_i32_b32 s61, s61
	v_mov_b32_e32 v9, v2
	v_mov_b32_e32 v8, s61
	ds_add_u64 v0, v[8:9]
	s_trap 2
.LBB4_966:                              ;   in Loop: Header=BB4_935 Depth=3
	s_or_b32 exec_lo, exec_lo, s23
	s_trap 2
	ds_read_b64 v[8:9], v0
	s_waitcnt lgkmcnt(0)
	buffer_gl0_inv
	v_add_co_u32 v12, vcc_lo, v12, v71
	v_add_co_ci_u32_e64 v13, null, 0, v13, vcc_lo
	s_mov_b32 s23, exec_lo
	v_cmpx_lt_u64_e64 v[8:9], v[12:13]
	s_cbranch_execz .LBB4_975
; %bb.967:                              ;   in Loop: Header=BB4_935 Depth=3
	s_mov_b32 s61, 0
	s_mov_b32 s72, 0
                                        ; implicit-def: $sgpr62
                                        ; implicit-def: $sgpr63
	s_inst_prefetch 0x1
	s_branch .LBB4_969
	.p2align	6
.LBB4_968:                              ;   in Loop: Header=BB4_969 Depth=4
	s_or_b32 exec_lo, exec_lo, s74
	s_and_b32 s73, exec_lo, s75
	s_or_b32 s61, s73, s61
	s_andn2_b32 s62, s62, exec_lo
	s_and_b32 s73, s63, exec_lo
	s_or_b32 s62, s62, s73
	s_andn2_b32 exec_lo, exec_lo, s61
	s_cbranch_execz .LBB4_973
.LBB4_969:                              ;   Parent Loop BB4_47 Depth=1
                                        ;     Parent Loop BB4_751 Depth=2
                                        ;       Parent Loop BB4_935 Depth=3
                                        ; =>      This Inner Loop Header: Depth=4
	s_add_i32 s72, s72, 1
	s_cmpk_lg_i32 s72, 0x2710
	s_cselect_b32 s73, -1, 0
	s_and_b32 vcc_lo, exec_lo, s73
	s_cbranch_vccz .LBB4_971
; %bb.970:                              ;   in Loop: Header=BB4_969 Depth=4
	s_mov_b32 s75, -1
	s_or_b32 s63, s63, exec_lo
	s_and_saveexec_b32 s74, s73
	s_cbranch_execz .LBB4_968
	s_branch .LBB4_972
	.p2align	6
.LBB4_971:                              ;   in Loop: Header=BB4_969 Depth=4
	s_trap 2
	ds_read_b64 v[8:9], v0
	s_andn2_b32 s73, s73, exec_lo
	s_mov_b32 s72, 0
	s_waitcnt lgkmcnt(0)
	flat_load_dword v8, v[8:9] glc dlc
	s_waitcnt vmcnt(0) lgkmcnt(0)
	buffer_gl1_inv
	buffer_gl0_inv
	v_cmp_eq_u32_e32 vcc_lo, 0, v8
	s_and_b32 s74, vcc_lo, exec_lo
	s_or_b32 s73, s73, s74
	s_mov_b32 s75, -1
	s_or_b32 s63, s63, exec_lo
	s_and_saveexec_b32 s74, s73
	s_cbranch_execz .LBB4_968
.LBB4_972:                              ;   in Loop: Header=BB4_969 Depth=4
	s_sleep 1
	s_trap 2
	ds_read_b64 v[8:9], v0
	s_waitcnt lgkmcnt(0)
	buffer_gl0_inv
	s_andn2_b32 s63, s63, exec_lo
	v_cmp_ge_u64_e32 vcc_lo, v[8:9], v[12:13]
	s_orn2_b32 s75, vcc_lo, exec_lo
	s_branch .LBB4_968
.LBB4_973:                              ;   in Loop: Header=BB4_935 Depth=3
	s_inst_prefetch 0x2
	s_or_b32 exec_lo, exec_lo, s61
	s_and_saveexec_b32 s61, s62
	s_xor_b32 s61, exec_lo, s61
	s_cbranch_execz .LBB4_975
; %bb.974:                              ;   in Loop: Header=BB4_935 Depth=3
	ds_write_b32 v0, v81
	s_trap 2
.LBB4_975:                              ;   in Loop: Header=BB4_935 Depth=3
	s_or_b32 exec_lo, exec_lo, s23
	;;#ASMSTART
	s_wakeup
	;;#ASMEND
.LBB4_976:                              ;   in Loop: Header=BB4_935 Depth=3
	s_or_b32 exec_lo, exec_lo, s22
.LBB4_977:                              ;   in Loop: Header=BB4_935 Depth=3
	s_andn2_saveexec_b32 s19, s19
	s_cbranch_execz .LBB4_979
; %bb.978:                              ;   in Loop: Header=BB4_935 Depth=3
	s_waitcnt vmcnt(0) lgkmcnt(0)
	s_waitcnt_vscnt null, 0x0
	buffer_gl1_inv
	buffer_gl0_inv
	s_barrier
.LBB4_979:                              ;   in Loop: Header=BB4_935 Depth=3
	s_or_b32 exec_lo, exec_lo, s19
.LBB4_980:                              ;   in Loop: Header=BB4_935 Depth=3
	s_or_b32 exec_lo, exec_lo, s16
                                        ; implicit-def: $vgpr8
	s_and_saveexec_b32 s16, s13
	s_xor_b32 s19, exec_lo, s16
	s_cbranch_execz .LBB4_984
; %bb.981:                              ;   in Loop: Header=BB4_935 Depth=3
	s_trap 2
	ds_read_b32 v8, v0
	v_cmp_lt_i32_e32 vcc_lo, 0, v48
	s_waitcnt lgkmcnt(0)
	v_readfirstlane_b32 s16, v8
	v_and_b32_e32 v8, 16, v69
	s_cmp_eq_u32 s16, 0
	v_cmp_ne_u32_e64 s16, 0, v8
	s_cselect_b32 s22, -1, 0
	v_and_b32_e32 v8, 16, v69
	s_and_b32 s22, vcc_lo, s22
	s_and_b32 s22, s16, s22
	s_and_saveexec_b32 s16, s22
	s_cbranch_execz .LBB4_983
; %bb.982:                              ;   in Loop: Header=BB4_935 Depth=3
	v_mov_b32_e32 v8, 1
	s_waitcnt vmcnt(0)
	s_waitcnt_vscnt null, 0x0
	buffer_gl1_inv
	buffer_gl0_inv
.LBB4_983:                              ;   in Loop: Header=BB4_935 Depth=3
	s_or_b32 exec_lo, exec_lo, s16
	s_andn2_saveexec_b32 s16, s19
	s_cbranch_execz .LBB4_1003
	s_branch .LBB4_985
.LBB4_984:                              ;   in Loop: Header=BB4_935 Depth=3
	s_andn2_saveexec_b32 s16, s19
	s_cbranch_execz .LBB4_1003
.LBB4_985:                              ;   in Loop: Header=BB4_935 Depth=3
	s_and_saveexec_b32 s19, s29
	s_xor_b32 s19, exec_lo, s19
	s_cbranch_execz .LBB4_1000
; %bb.986:                              ;   in Loop: Header=BB4_935 Depth=3
	s_and_saveexec_b32 s22, s11
	s_cbranch_execz .LBB4_999
; %bb.987:                              ;   in Loop: Header=BB4_935 Depth=3
	s_mov_b32 s61, exec_lo
	s_mov_b32 s23, exec_lo
	v_mbcnt_lo_u32_b32 v8, s61, 0
	;;#ASMSTART
	s_waitcnt lgkmcnt(0) vmcnt(0)
	;;#ASMEND
	v_cmpx_eq_u32_e32 0, v8
	s_cbranch_execz .LBB4_989
; %bb.988:                              ;   in Loop: Header=BB4_935 Depth=3
	s_bcnt1_i32_b32 s61, s61
	v_mov_b32_e32 v9, v2
	v_mov_b32_e32 v8, s61
	s_waitcnt vmcnt(0) lgkmcnt(0)
	s_waitcnt_vscnt null, 0x0
	ds_add_u64 v0, v[8:9]
	s_trap 2
.LBB4_989:                              ;   in Loop: Header=BB4_935 Depth=3
	s_or_b32 exec_lo, exec_lo, s23
	s_trap 2
	ds_read_b64 v[8:9], v0
	s_waitcnt vmcnt(0) lgkmcnt(0)
	buffer_gl0_inv
	v_add_co_u32 v12, vcc_lo, v12, v71
	v_add_co_ci_u32_e64 v13, null, 0, v13, vcc_lo
	s_mov_b32 s23, exec_lo
	v_cmpx_lt_u64_e64 v[8:9], v[12:13]
	s_cbranch_execz .LBB4_998
; %bb.990:                              ;   in Loop: Header=BB4_935 Depth=3
	s_mov_b32 s61, 0
	s_mov_b32 s72, 0
                                        ; implicit-def: $sgpr62
                                        ; implicit-def: $sgpr63
	s_inst_prefetch 0x1
	s_branch .LBB4_992
	.p2align	6
.LBB4_991:                              ;   in Loop: Header=BB4_992 Depth=4
	s_or_b32 exec_lo, exec_lo, s74
	s_and_b32 s73, exec_lo, s75
	s_or_b32 s61, s73, s61
	s_andn2_b32 s62, s62, exec_lo
	s_and_b32 s73, s63, exec_lo
	s_or_b32 s62, s62, s73
	s_andn2_b32 exec_lo, exec_lo, s61
	s_cbranch_execz .LBB4_996
.LBB4_992:                              ;   Parent Loop BB4_47 Depth=1
                                        ;     Parent Loop BB4_751 Depth=2
                                        ;       Parent Loop BB4_935 Depth=3
                                        ; =>      This Inner Loop Header: Depth=4
	s_add_i32 s72, s72, 1
	s_cmpk_lg_i32 s72, 0x2710
	s_cselect_b32 s73, -1, 0
	s_and_b32 vcc_lo, exec_lo, s73
	s_cbranch_vccz .LBB4_994
; %bb.993:                              ;   in Loop: Header=BB4_992 Depth=4
	s_mov_b32 s75, -1
	s_or_b32 s63, s63, exec_lo
	s_and_saveexec_b32 s74, s73
	s_cbranch_execz .LBB4_991
	s_branch .LBB4_995
	.p2align	6
.LBB4_994:                              ;   in Loop: Header=BB4_992 Depth=4
	s_trap 2
	ds_read_b64 v[8:9], v0
	s_andn2_b32 s73, s73, exec_lo
	s_mov_b32 s72, 0
	s_waitcnt lgkmcnt(0)
	s_waitcnt_vscnt null, 0x0
	flat_load_dword v8, v[8:9] glc dlc
	s_waitcnt vmcnt(0) lgkmcnt(0)
	buffer_gl1_inv
	buffer_gl0_inv
	v_cmp_eq_u32_e32 vcc_lo, 0, v8
	s_and_b32 s74, vcc_lo, exec_lo
	s_or_b32 s73, s73, s74
	s_mov_b32 s75, -1
	s_or_b32 s63, s63, exec_lo
	s_and_saveexec_b32 s74, s73
	s_cbranch_execz .LBB4_991
.LBB4_995:                              ;   in Loop: Header=BB4_992 Depth=4
	s_sleep 1
	s_trap 2
	ds_read_b64 v[8:9], v0
	s_waitcnt lgkmcnt(0)
	buffer_gl0_inv
	s_andn2_b32 s63, s63, exec_lo
	v_cmp_ge_u64_e32 vcc_lo, v[8:9], v[12:13]
	s_orn2_b32 s75, vcc_lo, exec_lo
	s_branch .LBB4_991
.LBB4_996:                              ;   in Loop: Header=BB4_935 Depth=3
	s_inst_prefetch 0x2
	s_or_b32 exec_lo, exec_lo, s61
	s_and_saveexec_b32 s61, s62
	s_xor_b32 s61, exec_lo, s61
	s_cbranch_execz .LBB4_998
; %bb.997:                              ;   in Loop: Header=BB4_935 Depth=3
	ds_write_b32 v0, v81
	s_trap 2
.LBB4_998:                              ;   in Loop: Header=BB4_935 Depth=3
	s_or_b32 exec_lo, exec_lo, s23
	;;#ASMSTART
	s_wakeup
	;;#ASMEND
.LBB4_999:                              ;   in Loop: Header=BB4_935 Depth=3
	s_or_b32 exec_lo, exec_lo, s22
.LBB4_1000:                             ;   in Loop: Header=BB4_935 Depth=3
	s_andn2_saveexec_b32 s19, s19
	s_cbranch_execz .LBB4_1002
; %bb.1001:                             ;   in Loop: Header=BB4_935 Depth=3
	;;#ASMSTART
	s_waitcnt lgkmcnt(0) vmcnt(0)
	;;#ASMEND
	s_barrier
.LBB4_1002:                             ;   in Loop: Header=BB4_935 Depth=3
	s_or_b32 exec_lo, exec_lo, s19
	v_and_b32_e32 v8, 16, v69
.LBB4_1003:                             ;   in Loop: Header=BB4_935 Depth=3
	s_or_b32 exec_lo, exec_lo, s16
	v_cmp_ne_u32_e32 vcc_lo, 0, v8
	s_xor_b32 s16, s7, -1
	s_and_b32 s19, vcc_lo, s16
	s_and_saveexec_b32 s16, s19
	s_cbranch_execz .LBB4_1005
; %bb.1004:                             ;   in Loop: Header=BB4_935 Depth=3
	s_waitcnt vmcnt(0) lgkmcnt(0)
	s_waitcnt_vscnt null, 0x0
	flat_store_dword v[24:25], v81
.LBB4_1005:                             ;   in Loop: Header=BB4_935 Depth=3
	s_or_b32 exec_lo, exec_lo, s16
	v_and_b32_e32 v8, 48, v69
	s_mov_b32 s16, exec_lo
	v_cmpx_ne_u32_e32 0, v8
	s_cbranch_execz .LBB4_934
; %bb.1006:                             ;   in Loop: Header=BB4_935 Depth=3
	v_add_co_u32 v36, vcc_lo, v36, 2
	v_add_co_ci_u32_e64 v37, null, 0, v37, vcc_lo
	s_waitcnt vmcnt(0) lgkmcnt(0)
	s_waitcnt_vscnt null, 0x0
	flat_store_dwordx2 v[20:21], v[36:37]
	s_branch .LBB4_934
.LBB4_1007:                             ;   in Loop: Header=BB4_751 Depth=2
	s_or_b32 exec_lo, exec_lo, s18
.LBB4_1008:                             ;   in Loop: Header=BB4_751 Depth=2
	s_or_b32 exec_lo, exec_lo, s17
	s_add_i32 s16, s21, 1
	s_cmp_eq_u32 s21, s56
	s_cbranch_scc1 .LBB4_1010
; %bb.1009:                             ;   in Loop: Header=BB4_751 Depth=2
	s_mov_b32 s21, s16
	s_branch .LBB4_751
.LBB4_1010:                             ;   in Loop: Header=BB4_47 Depth=1
	v_mul_lo_u32 v3, v35, s58
	v_mul_lo_u32 v10, v34, s59
	v_mad_u64_u32 v[8:9], null, v34, s58, 0
	v_mov_b32_e32 v51, 0
	v_add3_u32 v9, v9, v10, v3
	v_sub_co_u32 v10, vcc_lo, v38, v8
	v_sub_co_ci_u32_e64 v11, null, v39, v9, vcc_lo
	v_cmp_lt_i64_e32 vcc_lo, v[34:35], v[10:11]
	v_cndmask_b32_e32 v11, v10, v34, vcc_lo
	v_max_i32_e32 v3, 0, v11
	v_cmp_lt_i32_e32 vcc_lo, 0, v11
	v_add_nc_u32_e32 v10, 31, v3
	s_and_b32 s16, s57, vcc_lo
	v_lshrrev_b32_e32 v10, 1, v10
	v_and_b32_e32 v38, 0x3ffffff0, v10
	v_mov_b32_e32 v10, 0
	v_max_i32_e32 v50, s45, v38
	s_and_saveexec_b32 s18, s16
	s_cbranch_execz .LBB4_1150
; %bb.1011:                             ;   in Loop: Header=BB4_47 Depth=1
	v_add_co_u32 v52, vcc_lo, v8, v118
	v_add_co_ci_u32_e64 v53, null, v9, v119, vcc_lo
	v_mov_b32_e32 v51, 0
	s_mov_b32 s22, 1
	s_mov_b32 s21, -1
	s_mov_b32 s19, 0
	s_branch .LBB4_1013
.LBB4_1012:                             ;   in Loop: Header=BB4_1013 Depth=2
	s_or_b32 exec_lo, exec_lo, s16
	v_add_nc_u32_e32 v51, v50, v51
	s_xor_b32 s16, s21, -1
	v_mov_b32_e32 v10, s22
	s_mov_b32 s21, 0
	s_mov_b32 s22, 2
	v_cmp_ge_i32_e32 vcc_lo, v51, v3
	s_or_b32 s16, s16, vcc_lo
	s_and_b32 s16, exec_lo, s16
	s_or_b32 s19, s16, s19
	s_andn2_b32 exec_lo, exec_lo, s19
	s_cbranch_execz .LBB4_1149
.LBB4_1013:                             ;   Parent Loop BB4_47 Depth=1
                                        ; =>  This Loop Header: Depth=2
                                        ;       Child Loop BB4_1021 Depth 3
                                        ;       Child Loop BB4_1045 Depth 3
                                        ;       Child Loop BB4_1064 Depth 3
                                        ;       Child Loop BB4_1090 Depth 3
                                        ;       Child Loop BB4_1095 Depth 3
                                        ;       Child Loop BB4_1103 Depth 3
                                        ;       Child Loop BB4_1108 Depth 3
                                        ;       Child Loop BB4_1117 Depth 3
                                        ;       Child Loop BB4_1136 Depth 3
	s_and_saveexec_b32 s17, s4
	s_cbranch_execz .LBB4_1015
; %bb.1014:                             ;   in Loop: Header=BB4_1013 Depth=2
	s_trap 2
	ds_read_b128 v[8:11], v0
	v_ashrrev_i32_e32 v38, 31, v51
	s_waitcnt lgkmcnt(0)
	v_add_co_u32 v39, vcc_lo, v10, v52
	v_add_co_ci_u32_e64 v48, null, v11, v53, vcc_lo
	v_add_co_u32 v8, vcc_lo, v8, v52
	v_add_co_ci_u32_e64 v9, null, v9, v53, vcc_lo
	;; [unrolled: 2-line block ×3, first 2 shown]
	v_cmp_ne_u64_e32 vcc_lo, 0, v[10:11]
	v_add_co_u32 v8, s16, v8, v51
	v_add_co_ci_u32_e64 v9, null, v9, v38, s16
	v_cndmask_b32_e32 v11, 0, v48, vcc_lo
	v_cndmask_b32_e32 v10, 0, v39, vcc_lo
	ds_write_b64 v0, v[8:9]
	ds_write_b64 v0, v[10:11]
.LBB4_1015:                             ;   in Loop: Header=BB4_1013 Depth=2
	s_or_b32 exec_lo, exec_lo, s17
	v_and_b32_e32 v8, 4, v69
	s_mov_b32 s17, exec_lo
	v_cmpx_ne_u32_e32 0, v8
	s_cbranch_execz .LBB4_1037
; %bb.1016:                             ;   in Loop: Header=BB4_1013 Depth=2
	v_add_co_u32 v8, vcc_lo, v36, 2
	v_add_co_ci_u32_e64 v9, null, 0, v37, vcc_lo
	s_mov_b32 s23, exec_lo
	s_waitcnt vmcnt(0) lgkmcnt(1)
	v_cmpx_lt_u64_e64 v[26:27], v[8:9]
	s_cbranch_execz .LBB4_1028
; %bb.1017:                             ;   in Loop: Header=BB4_1013 Depth=2
	v_and_b32_e32 v10, 64, v69
	s_mov_b32 s61, 0
	s_mov_b32 s73, 0
                                        ; implicit-def: $sgpr62
                                        ; implicit-def: $sgpr63
                                        ; implicit-def: $sgpr72
	v_cmp_eq_u32_e32 vcc_lo, 0, v10
	s_branch .LBB4_1021
.LBB4_1018:                             ;   in Loop: Header=BB4_1021 Depth=3
	s_waitcnt vmcnt(0) lgkmcnt(0)
	v_cmp_ge_u64_e64 s16, v[26:27], v[8:9]
	s_or_b32 s76, s76, exec_lo
	s_orn2_b32 s75, s16, exec_lo
.LBB4_1019:                             ;   in Loop: Header=BB4_1021 Depth=3
	s_or_b32 exec_lo, exec_lo, s78
	s_andn2_b32 s16, s72, exec_lo
	s_and_b32 s72, s76, exec_lo
	s_andn2_b32 s63, s63, exec_lo
	s_and_b32 s75, s75, exec_lo
	s_or_b32 s72, s16, s72
	s_or_b32 s63, s63, s75
.LBB4_1020:                             ;   in Loop: Header=BB4_1021 Depth=3
	s_or_b32 exec_lo, exec_lo, s74
	s_and_b32 s16, exec_lo, s63
	s_or_b32 s61, s16, s61
	s_andn2_b32 s16, s62, exec_lo
	s_and_b32 s62, s72, exec_lo
	s_or_b32 s62, s16, s62
	s_andn2_b32 exec_lo, exec_lo, s61
	s_cbranch_execz .LBB4_1025
.LBB4_1021:                             ;   Parent Loop BB4_47 Depth=1
                                        ;     Parent Loop BB4_1013 Depth=2
                                        ; =>    This Inner Loop Header: Depth=3
	s_sleep 1
	s_waitcnt vmcnt(0) lgkmcnt(0)
	flat_load_dwordx2 v[26:27], v[20:21] glc dlc
	s_or_b32 s72, s72, exec_lo
	s_or_b32 s63, s63, exec_lo
                                        ; implicit-def: $vgpr10
	s_and_saveexec_b32 s74, vcc_lo
	s_cbranch_execz .LBB4_1020
; %bb.1022:                             ;   in Loop: Header=BB4_1021 Depth=3
	s_cmpk_lt_i32 s73, 0x270f
	s_mov_b32 s75, -1
	s_cselect_b32 s77, -1, 0
	s_cmpk_gt_i32 s73, 0x270e
	s_cbranch_scc0 .LBB4_1024
; %bb.1023:                             ;   in Loop: Header=BB4_1021 Depth=3
	s_trap 2
	ds_read_b64 v[10:11], v0
	s_andn2_b32 s73, s77, exec_lo
	s_mov_b32 s76, 0
	s_waitcnt vmcnt(0) lgkmcnt(0)
	s_waitcnt_vscnt null, 0x0
	flat_load_dword v10, v[10:11] glc dlc
	s_waitcnt vmcnt(0) lgkmcnt(0)
	buffer_gl1_inv
	buffer_gl0_inv
	v_cmp_eq_u32_e64 s16, 0, v10
	s_and_b32 s16, s16, exec_lo
	s_or_b32 s77, s73, s16
	s_mov_b32 s73, 0
	s_and_saveexec_b32 s78, s77
	s_cbranch_execz .LBB4_1019
	s_branch .LBB4_1018
.LBB4_1024:                             ;   in Loop: Header=BB4_1021 Depth=3
	s_add_i32 s73, s73, 1
	s_mov_b32 s76, -1
                                        ; implicit-def: $vgpr10
	s_and_saveexec_b32 s78, s77
	s_cbranch_execz .LBB4_1019
	s_branch .LBB4_1018
.LBB4_1025:                             ;   in Loop: Header=BB4_1013 Depth=2
	s_or_b32 exec_lo, exec_lo, s61
	s_xor_b32 s16, s62, -1
	s_and_saveexec_b32 s61, s16
	s_xor_b32 s16, exec_lo, s61
	s_cbranch_execz .LBB4_1027
; %bb.1026:                             ;   in Loop: Header=BB4_1013 Depth=2
	v_or_b32_e32 v69, 64, v69
	s_waitcnt vmcnt(0) lgkmcnt(0)
	s_waitcnt_vscnt null, 0x0
	ds_write_b32 v0, v10
	s_trap 2
.LBB4_1027:                             ;   in Loop: Header=BB4_1013 Depth=2
	s_or_b32 exec_lo, exec_lo, s16
.LBB4_1028:                             ;   in Loop: Header=BB4_1013 Depth=2
	s_or_b32 exec_lo, exec_lo, s23
	v_and_b32_e32 v10, 0x100, v69
	v_and_b32_e32 v38, 7, v36
	s_mov_b32 s16, -1
	;;#ASMSTART
	s_wakeup
	;;#ASMEND
	v_cmp_ne_u32_e32 vcc_lo, 0, v10
                                        ; implicit-def: $vgpr10_vgpr11
	s_and_saveexec_b32 s23, vcc_lo
	s_cbranch_execz .LBB4_1032
; %bb.1029:                             ;   in Loop: Header=BB4_1013 Depth=2
	v_mad_u64_u32 v[36:37], null, v38, 24, v[6:7]
	flat_load_dword v10, v[36:37]
	s_waitcnt vmcnt(0) lgkmcnt(0)
	v_cmp_eq_u32_e64 s16, 1, v10
	v_cmp_ne_u32_e32 vcc_lo, 1, v10
                                        ; implicit-def: $vgpr10_vgpr11
	s_and_saveexec_b32 s61, s16
	s_cbranch_execz .LBB4_1031
; %bb.1030:                             ;   in Loop: Header=BB4_1013 Depth=2
	flat_load_dword v10, v[36:37] offset:4 glc dlc
	s_waitcnt vmcnt(0) lgkmcnt(0)
	v_ashrrev_i32_e32 v11, 31, v10
.LBB4_1031:                             ;   in Loop: Header=BB4_1013 Depth=2
	s_or_b32 exec_lo, exec_lo, s61
	s_orn2_b32 s16, vcc_lo, exec_lo
.LBB4_1032:                             ;   in Loop: Header=BB4_1013 Depth=2
	s_or_b32 exec_lo, exec_lo, s23
	s_and_saveexec_b32 s23, s16
; %bb.1033:                             ;   in Loop: Header=BB4_1013 Depth=2
	v_mad_i64_i32 v[10:11], null, v38, v70, 0
; %bb.1034:                             ;   in Loop: Header=BB4_1013 Depth=2
	s_or_b32 exec_lo, exec_lo, s23
	v_add_co_u32 v10, vcc_lo, v22, v10
	v_and_b32_e32 v36, 0x2000, v69
	v_add_co_ci_u32_e64 v11, null, v23, v11, vcc_lo
	s_mov_b32 s16, exec_lo
	ds_write_b64 v0, v[10:11] offset:720
	v_cmpx_ne_u32_e32 0, v36
	s_cbranch_execz .LBB4_1036
; %bb.1035:                             ;   in Loop: Header=BB4_1013 Depth=2
	ds_read_b64 v[10:11], v0 offset:872
	s_waitcnt lgkmcnt(0)
	v_add_co_u32 v10, vcc_lo, v10, 1
	v_add_co_ci_u32_e64 v11, null, 0, v11, vcc_lo
	ds_write_b64 v0, v[10:11] offset:872
.LBB4_1036:                             ;   in Loop: Header=BB4_1013 Depth=2
	s_or_b32 exec_lo, exec_lo, s16
	v_mov_b32_e32 v37, v9
	v_mov_b32_e32 v36, v8
.LBB4_1037:                             ;   in Loop: Header=BB4_1013 Depth=2
	s_or_b32 exec_lo, exec_lo, s17
	s_and_saveexec_b32 s16, s6
	s_cbranch_execz .LBB4_1056
; %bb.1038:                             ;   in Loop: Header=BB4_1013 Depth=2
	s_and_saveexec_b32 s17, s29
	s_xor_b32 s17, exec_lo, s17
	s_cbranch_execz .LBB4_1053
; %bb.1039:                             ;   in Loop: Header=BB4_1013 Depth=2
	s_and_saveexec_b32 s23, s11
	s_cbranch_execz .LBB4_1052
; %bb.1040:                             ;   in Loop: Header=BB4_1013 Depth=2
	s_mov_b32 s62, exec_lo
	s_mov_b32 s61, exec_lo
	v_mbcnt_lo_u32_b32 v8, s62, 0
	s_waitcnt vmcnt(0) lgkmcnt(0)
	s_waitcnt_vscnt null, 0x0
	buffer_gl1_inv
	buffer_gl0_inv
	v_cmpx_eq_u32_e32 0, v8
	s_cbranch_execz .LBB4_1042
; %bb.1041:                             ;   in Loop: Header=BB4_1013 Depth=2
	s_bcnt1_i32_b32 s62, s62
	v_mov_b32_e32 v9, v2
	v_mov_b32_e32 v8, s62
	ds_add_u64 v0, v[8:9]
	s_trap 2
.LBB4_1042:                             ;   in Loop: Header=BB4_1013 Depth=2
	s_or_b32 exec_lo, exec_lo, s61
	s_trap 2
	ds_read_b64 v[8:9], v0
	s_waitcnt lgkmcnt(0)
	buffer_gl0_inv
	v_add_co_u32 v12, vcc_lo, v12, v71
	v_add_co_ci_u32_e64 v13, null, 0, v13, vcc_lo
	s_mov_b32 s61, exec_lo
	v_cmpx_lt_u64_e64 v[8:9], v[12:13]
	s_cbranch_execz .LBB4_1051
; %bb.1043:                             ;   in Loop: Header=BB4_1013 Depth=2
	s_mov_b32 s62, 0
	s_mov_b32 s73, 0
                                        ; implicit-def: $sgpr63
                                        ; implicit-def: $sgpr72
	s_inst_prefetch 0x1
	s_branch .LBB4_1045
	.p2align	6
.LBB4_1044:                             ;   in Loop: Header=BB4_1045 Depth=3
	s_or_b32 exec_lo, exec_lo, s75
	s_and_b32 s74, exec_lo, s76
	s_or_b32 s62, s74, s62
	s_andn2_b32 s63, s63, exec_lo
	s_and_b32 s74, s72, exec_lo
	s_or_b32 s63, s63, s74
	s_andn2_b32 exec_lo, exec_lo, s62
	s_cbranch_execz .LBB4_1049
.LBB4_1045:                             ;   Parent Loop BB4_47 Depth=1
                                        ;     Parent Loop BB4_1013 Depth=2
                                        ; =>    This Inner Loop Header: Depth=3
	s_add_i32 s73, s73, 1
	s_cmpk_lg_i32 s73, 0x2710
	s_cselect_b32 s74, -1, 0
	s_and_b32 vcc_lo, exec_lo, s74
	s_cbranch_vccz .LBB4_1047
; %bb.1046:                             ;   in Loop: Header=BB4_1045 Depth=3
	s_mov_b32 s76, -1
	s_or_b32 s72, s72, exec_lo
	s_and_saveexec_b32 s75, s74
	s_cbranch_execz .LBB4_1044
	s_branch .LBB4_1048
	.p2align	6
.LBB4_1047:                             ;   in Loop: Header=BB4_1045 Depth=3
	s_trap 2
	ds_read_b64 v[8:9], v0
	s_andn2_b32 s74, s74, exec_lo
	s_mov_b32 s73, 0
	s_waitcnt lgkmcnt(0)
	flat_load_dword v8, v[8:9] glc dlc
	s_waitcnt vmcnt(0) lgkmcnt(0)
	buffer_gl1_inv
	buffer_gl0_inv
	v_cmp_eq_u32_e32 vcc_lo, 0, v8
	s_and_b32 s75, vcc_lo, exec_lo
	s_or_b32 s74, s74, s75
	s_mov_b32 s76, -1
	s_or_b32 s72, s72, exec_lo
	s_and_saveexec_b32 s75, s74
	s_cbranch_execz .LBB4_1044
.LBB4_1048:                             ;   in Loop: Header=BB4_1045 Depth=3
	s_sleep 1
	s_trap 2
	ds_read_b64 v[8:9], v0
	s_waitcnt lgkmcnt(0)
	buffer_gl0_inv
	s_andn2_b32 s72, s72, exec_lo
	v_cmp_ge_u64_e32 vcc_lo, v[8:9], v[12:13]
	s_orn2_b32 s76, vcc_lo, exec_lo
	s_branch .LBB4_1044
.LBB4_1049:                             ;   in Loop: Header=BB4_1013 Depth=2
	s_inst_prefetch 0x2
	s_or_b32 exec_lo, exec_lo, s62
	s_and_saveexec_b32 s62, s63
	s_xor_b32 s62, exec_lo, s62
	s_cbranch_execz .LBB4_1051
; %bb.1050:                             ;   in Loop: Header=BB4_1013 Depth=2
	ds_write_b32 v0, v81
	s_trap 2
.LBB4_1051:                             ;   in Loop: Header=BB4_1013 Depth=2
	s_or_b32 exec_lo, exec_lo, s61
	;;#ASMSTART
	s_wakeup
	;;#ASMEND
.LBB4_1052:                             ;   in Loop: Header=BB4_1013 Depth=2
	s_or_b32 exec_lo, exec_lo, s23
.LBB4_1053:                             ;   in Loop: Header=BB4_1013 Depth=2
	s_andn2_saveexec_b32 s17, s17
	s_cbranch_execz .LBB4_1055
; %bb.1054:                             ;   in Loop: Header=BB4_1013 Depth=2
	s_waitcnt vmcnt(0) lgkmcnt(0)
	s_waitcnt_vscnt null, 0x0
	buffer_gl1_inv
	buffer_gl0_inv
	s_barrier
.LBB4_1055:                             ;   in Loop: Header=BB4_1013 Depth=2
	s_or_b32 exec_lo, exec_lo, s17
.LBB4_1056:                             ;   in Loop: Header=BB4_1013 Depth=2
	s_or_b32 exec_lo, exec_lo, s16
	s_trap 2
	ds_read_b32 v38, v0
	v_and_b32_e32 v8, 0x4000, v69
	s_xor_b32 s16, s5, -1
	v_cmp_ne_u32_e32 vcc_lo, 0, v8
	s_and_b32 s17, s16, vcc_lo
	s_and_saveexec_b32 s16, s17
	s_cbranch_execz .LBB4_1075
; %bb.1057:                             ;   in Loop: Header=BB4_1013 Depth=2
	s_and_saveexec_b32 s17, s29
	s_xor_b32 s17, exec_lo, s17
	s_cbranch_execz .LBB4_1072
; %bb.1058:                             ;   in Loop: Header=BB4_1013 Depth=2
	s_and_saveexec_b32 s23, s11
	s_cbranch_execz .LBB4_1071
; %bb.1059:                             ;   in Loop: Header=BB4_1013 Depth=2
	s_mov_b32 s62, exec_lo
	s_mov_b32 s61, exec_lo
	v_mbcnt_lo_u32_b32 v8, s62, 0
	s_waitcnt vmcnt(0) lgkmcnt(0)
	s_waitcnt_vscnt null, 0x0
	buffer_gl1_inv
	buffer_gl0_inv
	v_cmpx_eq_u32_e32 0, v8
	s_cbranch_execz .LBB4_1061
; %bb.1060:                             ;   in Loop: Header=BB4_1013 Depth=2
	s_bcnt1_i32_b32 s62, s62
	v_mov_b32_e32 v9, v2
	v_mov_b32_e32 v8, s62
	ds_add_u64 v0, v[8:9]
	s_trap 2
.LBB4_1061:                             ;   in Loop: Header=BB4_1013 Depth=2
	s_or_b32 exec_lo, exec_lo, s61
	s_trap 2
	ds_read_b64 v[8:9], v0
	s_waitcnt lgkmcnt(0)
	buffer_gl0_inv
	v_add_co_u32 v12, vcc_lo, v12, v71
	v_add_co_ci_u32_e64 v13, null, 0, v13, vcc_lo
	s_mov_b32 s61, exec_lo
	v_cmpx_lt_u64_e64 v[8:9], v[12:13]
	s_cbranch_execz .LBB4_1070
; %bb.1062:                             ;   in Loop: Header=BB4_1013 Depth=2
	s_mov_b32 s62, 0
	s_mov_b32 s73, 0
                                        ; implicit-def: $sgpr63
                                        ; implicit-def: $sgpr72
	s_inst_prefetch 0x1
	s_branch .LBB4_1064
	.p2align	6
.LBB4_1063:                             ;   in Loop: Header=BB4_1064 Depth=3
	s_or_b32 exec_lo, exec_lo, s75
	s_and_b32 s74, exec_lo, s76
	s_or_b32 s62, s74, s62
	s_andn2_b32 s63, s63, exec_lo
	s_and_b32 s74, s72, exec_lo
	s_or_b32 s63, s63, s74
	s_andn2_b32 exec_lo, exec_lo, s62
	s_cbranch_execz .LBB4_1068
.LBB4_1064:                             ;   Parent Loop BB4_47 Depth=1
                                        ;     Parent Loop BB4_1013 Depth=2
                                        ; =>    This Inner Loop Header: Depth=3
	s_add_i32 s73, s73, 1
	s_cmpk_lg_i32 s73, 0x2710
	s_cselect_b32 s74, -1, 0
	s_and_b32 vcc_lo, exec_lo, s74
	s_cbranch_vccz .LBB4_1066
; %bb.1065:                             ;   in Loop: Header=BB4_1064 Depth=3
	s_mov_b32 s76, -1
	s_or_b32 s72, s72, exec_lo
	s_and_saveexec_b32 s75, s74
	s_cbranch_execz .LBB4_1063
	s_branch .LBB4_1067
	.p2align	6
.LBB4_1066:                             ;   in Loop: Header=BB4_1064 Depth=3
	s_trap 2
	ds_read_b64 v[8:9], v0
	s_andn2_b32 s74, s74, exec_lo
	s_mov_b32 s73, 0
	s_waitcnt lgkmcnt(0)
	flat_load_dword v8, v[8:9] glc dlc
	s_waitcnt vmcnt(0) lgkmcnt(0)
	buffer_gl1_inv
	buffer_gl0_inv
	v_cmp_eq_u32_e32 vcc_lo, 0, v8
	s_and_b32 s75, vcc_lo, exec_lo
	s_or_b32 s74, s74, s75
	s_mov_b32 s76, -1
	s_or_b32 s72, s72, exec_lo
	s_and_saveexec_b32 s75, s74
	s_cbranch_execz .LBB4_1063
.LBB4_1067:                             ;   in Loop: Header=BB4_1064 Depth=3
	s_sleep 1
	s_trap 2
	ds_read_b64 v[8:9], v0
	s_waitcnt lgkmcnt(0)
	buffer_gl0_inv
	s_andn2_b32 s72, s72, exec_lo
	v_cmp_ge_u64_e32 vcc_lo, v[8:9], v[12:13]
	s_orn2_b32 s76, vcc_lo, exec_lo
	s_branch .LBB4_1063
.LBB4_1068:                             ;   in Loop: Header=BB4_1013 Depth=2
	s_inst_prefetch 0x2
	s_or_b32 exec_lo, exec_lo, s62
	s_and_saveexec_b32 s62, s63
	s_xor_b32 s62, exec_lo, s62
	s_cbranch_execz .LBB4_1070
; %bb.1069:                             ;   in Loop: Header=BB4_1013 Depth=2
	ds_write_b32 v0, v81
	s_trap 2
.LBB4_1070:                             ;   in Loop: Header=BB4_1013 Depth=2
	s_or_b32 exec_lo, exec_lo, s61
	;;#ASMSTART
	s_wakeup
	;;#ASMEND
.LBB4_1071:                             ;   in Loop: Header=BB4_1013 Depth=2
	s_or_b32 exec_lo, exec_lo, s23
.LBB4_1072:                             ;   in Loop: Header=BB4_1013 Depth=2
	s_andn2_saveexec_b32 s17, s17
	s_cbranch_execz .LBB4_1074
; %bb.1073:                             ;   in Loop: Header=BB4_1013 Depth=2
	s_waitcnt vmcnt(0) lgkmcnt(0)
	s_waitcnt_vscnt null, 0x0
	buffer_gl1_inv
	buffer_gl0_inv
	s_barrier
.LBB4_1074:                             ;   in Loop: Header=BB4_1013 Depth=2
	s_or_b32 exec_lo, exec_lo, s17
.LBB4_1075:                             ;   in Loop: Header=BB4_1013 Depth=2
	s_or_b32 exec_lo, exec_lo, s16
	s_trap 2
	ds_read_b64 v[8:9], v0
	v_sub_nc_u32_e32 v10, v3, v51
	v_min_i32_e32 v50, v50, v10
	s_waitcnt lgkmcnt(0)
	v_cmp_eq_u64_e32 vcc_lo, 0, v[8:9]
	s_cbranch_vccnz .LBB4_1083
; %bb.1076:                             ;   in Loop: Header=BB4_1013 Depth=2
	s_trap 2
	ds_read_b64 v[10:11], v0
	s_waitcnt lgkmcnt(0)
	v_cmp_eq_u64_e32 vcc_lo, 0, v[10:11]
	s_cbranch_vccnz .LBB4_1083
; %bb.1077:                             ;   in Loop: Header=BB4_1013 Depth=2
	s_mov_b32 s16, -1
	s_and_saveexec_b32 s17, s14
	s_cbranch_execz .LBB4_1079
; %bb.1078:                             ;   in Loop: Header=BB4_1013 Depth=2
	ds_read_b32 v39, v0 offset:720
	s_waitcnt lgkmcnt(0)
	v_and_b32_e32 v39, 15, v39
	v_cmp_eq_u32_e32 vcc_lo, 0, v39
	s_orn2_b32 s16, vcc_lo, exec_lo
.LBB4_1079:                             ;   in Loop: Header=BB4_1013 Depth=2
	s_or_b32 exec_lo, exec_lo, s17
	s_and_saveexec_b32 s17, s12
	s_cbranch_execz .LBB4_1081
; %bb.1080:                             ;   in Loop: Header=BB4_1013 Depth=2
	ds_read_b32 v39, v0 offset:784
	s_waitcnt lgkmcnt(0)
	v_and_b32_e32 v39, 15, v39
	v_cmp_eq_u32_e32 vcc_lo, 0, v39
	s_and_b32 s23, s16, vcc_lo
	s_andn2_b32 s16, s16, exec_lo
	s_and_b32 s23, s23, exec_lo
	s_or_b32 s16, s16, s23
.LBB4_1081:                             ;   in Loop: Header=BB4_1013 Depth=2
	s_or_b32 exec_lo, exec_lo, s17
	v_cmp_eq_u32_e32 vcc_lo, 0, v38
	s_xor_b32 s16, s16, -1
	v_mov_b32_e32 v38, 0
	v_cndmask_b32_e64 v39, 0, 1, s16
	v_mov_b32_e32 v48, v0
	v_cndmask_b32_e32 v54, 0, v50, vcc_lo
	v_mov_b32_e32 v67, v99
	s_mov_b32 s16, -1
	v_cmp_ne_u32_e32 vcc_lo, 0, v39
	v_mov_b32_e32 v39, v54
	s_cbranch_vccz .LBB4_1088
; %bb.1082:                             ;   in Loop: Header=BB4_1013 Depth=2
	s_and_saveexec_b32 s17, s16
	s_cbranch_execnz .LBB4_1101
	s_branch .LBB4_1109
.LBB4_1083:                             ;   in Loop: Header=BB4_1013 Depth=2
	s_mov_b32 s16, 0
	s_and_saveexec_b32 s17, s6
	s_cbranch_execnz .LBB4_1110
.LBB4_1084:                             ;   in Loop: Header=BB4_1013 Depth=2
	s_or_b32 exec_lo, exec_lo, s17
	s_and_saveexec_b32 s17, s13
	s_xor_b32 s17, exec_lo, s17
	s_cbranch_execz .LBB4_1128
.LBB4_1085:                             ;   in Loop: Header=BB4_1013 Depth=2
	v_and_b32_e32 v8, 16, v69
	v_cmp_ne_u32_e32 vcc_lo, 0, v8
	s_and_b32 s23, vcc_lo, s16
	s_and_saveexec_b32 s16, s23
	s_cbranch_execz .LBB4_1087
; %bb.1086:                             ;   in Loop: Header=BB4_1013 Depth=2
	s_waitcnt vmcnt(0) lgkmcnt(0)
	s_waitcnt_vscnt null, 0x0
	buffer_gl1_inv
	buffer_gl0_inv
.LBB4_1087:                             ;   in Loop: Header=BB4_1013 Depth=2
	s_or_b32 exec_lo, exec_lo, s16
	s_andn2_saveexec_b32 s16, s17
	s_cbranch_execz .LBB4_1147
	s_branch .LBB4_1129
.LBB4_1088:                             ;   in Loop: Header=BB4_1013 Depth=2
	v_ashrrev_i32_e32 v38, 31, v54
	s_mov_b32 s17, exec_lo
	v_lshrrev_b32_e32 v38, 21, v38
	v_add_nc_u32_e32 v38, v54, v38
	v_ashrrev_i32_e32 v64, 11, v38
	v_sub_nc_u32_e32 v55, v64, v99
	v_cmpx_lt_i32_e32 0, v55
	s_cbranch_execz .LBB4_1092
; %bb.1089:                             ;   in Loop: Header=BB4_1013 Depth=2
	v_mov_b32_e32 v39, v11
	v_mov_b32_e32 v49, v9
	;; [unrolled: 1-line block ×4, first 2 shown]
	s_mov_b32 s23, 0
	s_inst_prefetch 0x1
	.p2align	6
.LBB4_1090:                             ;   Parent Loop BB4_47 Depth=1
                                        ;     Parent Loop BB4_1013 Depth=2
                                        ; =>    This Inner Loop Header: Depth=3
	v_add_co_u32 v65, vcc_lo, v112, v48
	v_add_co_ci_u32_e64 v66, null, v116, v49, vcc_lo
	v_sub_nc_u32_e32 v55, v55, v71
	s_clause 0x3
	global_load_dwordx4 v[40:43], v[65:66], off slc
	global_load_dwordx4 v[44:47], v[65:66], off offset:512 slc
	global_load_dwordx4 v[56:59], v[65:66], off offset:1024 slc
	;; [unrolled: 1-line block ×3, first 2 shown]
	v_add_co_u32 v65, vcc_lo, v112, v38
	v_add_co_ci_u32_e64 v66, null, v116, v39, vcc_lo
	v_add_co_u32 v48, vcc_lo, v48, v85
	v_add_co_ci_u32_e64 v49, null, 0, v49, vcc_lo
	v_add_co_u32 v38, vcc_lo, v38, v85
	v_cmp_gt_i32_e64 s16, 1, v55
	v_add_co_ci_u32_e64 v39, null, 0, v39, vcc_lo
	s_waitcnt vmcnt(3)
	global_store_dwordx4 v[65:66], v[40:43], off glc slc
	s_waitcnt vmcnt(2)
	global_store_dwordx4 v[65:66], v[44:47], off offset:512 glc slc
	s_waitcnt vmcnt(1)
	global_store_dwordx4 v[65:66], v[56:59], off offset:1024 glc slc
	;; [unrolled: 2-line block ×3, first 2 shown]
	s_or_b32 s23, s16, s23
	s_andn2_b32 exec_lo, exec_lo, s23
	s_cbranch_execnz .LBB4_1090
; %bb.1091:                             ;   in Loop: Header=BB4_1013 Depth=2
	s_inst_prefetch 0x2
	s_or_b32 exec_lo, exec_lo, s23
.LBB4_1092:                             ;   in Loop: Header=BB4_1013 Depth=2
	s_or_b32 exec_lo, exec_lo, s17
	v_lshlrev_b32_e32 v49, 11, v64
	v_mov_b32_e32 v38, 0
	s_mov_b32 s16, 0
	s_mov_b32 s23, exec_lo
                                        ; implicit-def: $vgpr39
                                        ; implicit-def: $vgpr48
                                        ; implicit-def: $vgpr67
	v_cmpx_ne_u32_e64 v54, v49
	s_cbranch_execz .LBB4_1100
; %bb.1093:                             ;   in Loop: Header=BB4_1013 Depth=2
	v_lshlrev_b32_e32 v38, 5, v55
	v_sub_nc_u32_e32 v48, v54, v49
	s_mov_b32 s61, exec_lo
	v_sub_nc_u32_e32 v38, v101, v38
	v_ashrrev_i32_e32 v55, 31, v48
	v_ashrrev_i32_e32 v39, 31, v38
	v_lshrrev_b32_e32 v55, 23, v55
	v_lshrrev_b32_e32 v39, 27, v39
	v_add_nc_u32_e32 v66, v48, v55
	v_add_nc_u32_e32 v39, v38, v39
	v_and_b32_e32 v55, 0xfffffe00, v66
	v_ashrrev_i32_e32 v66, 9, v66
	v_and_b32_e32 v64, 0xffffffe0, v39
	v_sub_nc_u32_e32 v65, v48, v55
	v_ashrrev_i32_e32 v67, 5, v39
	v_sub_nc_u32_e32 v64, v38, v64
	v_cmp_lt_i32_e32 vcc_lo, 15, v65
	v_lshlrev_b32_e32 v38, 4, v64
	v_add_co_ci_u32_e64 v66, null, 0, v66, vcc_lo
	v_lshl_add_u32 v39, v67, 9, v38
	v_sub_nc_u32_e32 v66, v66, v67
	v_sub_nc_u32_e32 v38, v48, v39
	v_cmpx_lt_i32_e32 15, v38
	s_cbranch_execz .LBB4_1097
; %bb.1094:                             ;   in Loop: Header=BB4_1013 Depth=2
	v_add_nc_u32_e32 v39, v39, v49
	s_mov_b32 s62, 0
	v_ashrrev_i32_e32 v48, 31, v39
	.p2align	6
.LBB4_1095:                             ;   Parent Loop BB4_47 Depth=1
                                        ;     Parent Loop BB4_1013 Depth=2
                                        ; =>    This Inner Loop Header: Depth=3
	v_add_co_u32 v118, s16, v8, v39
	v_add_co_ci_u32_e64 v119, null, v9, v48, s16
	v_sub_nc_u32_e32 v38, v38, v86
	v_sub_nc_u32_e32 v66, v66, v71
	global_load_dwordx4 v[40:43], v[118:119], off slc
	v_add_co_u32 v118, s16, v10, v39
	v_add_co_ci_u32_e64 v119, null, v11, v48, s16
	v_cmp_gt_i32_e64 s16, 16, v38
	v_add_co_u32 v39, s17, v39, v86
	v_add_co_ci_u32_e64 v48, null, 0, v48, s17
	s_or_b32 s62, s16, s62
	s_waitcnt vmcnt(0)
	global_store_dwordx4 v[118:119], v[40:43], off glc slc
	s_andn2_b32 exec_lo, exec_lo, s62
	s_cbranch_execnz .LBB4_1095
; %bb.1096:                             ;   in Loop: Header=BB4_1013 Depth=2
	s_or_b32 exec_lo, exec_lo, s62
.LBB4_1097:                             ;   in Loop: Header=BB4_1013 Depth=2
	s_or_b32 exec_lo, exec_lo, s61
	v_and_b32_e32 v118, 15, v54
	v_mov_b32_e32 v38, 0
	s_mov_b32 s17, 0
	s_mov_b32 s61, exec_lo
                                        ; implicit-def: $vgpr48
                                        ; implicit-def: $vgpr67
	v_cndmask_b32_e32 v39, v65, v118, vcc_lo
	v_cmpx_ne_u32_e32 0, v39
	s_cbranch_execz .LBB4_1099
; %bb.1098:                             ;   in Loop: Header=BB4_1013 Depth=2
	v_cmp_lt_i32_e64 s16, 0, v66
	s_mov_b32 s17, exec_lo
	v_cndmask_b32_e64 v38, 0, v71, s16
	v_sub_nc_u32_e32 v38, v38, v66
	v_lshl_add_u32 v48, v38, 5, v64
	v_sub_nc_u32_e32 v64, v65, v118
	v_ashrrev_i32_e32 v38, 31, v48
	v_cndmask_b32_e32 v64, 0, v64, vcc_lo
	v_lshrrev_b32_e32 v38, 27, v38
	v_add_nc_u32_e32 v65, v48, v38
	v_add3_u32 v38, v55, v49, v64
	v_ashrrev_i32_e32 v67, 5, v65
.LBB4_1099:                             ;   in Loop: Header=BB4_1013 Depth=2
	s_or_b32 exec_lo, exec_lo, s61
	s_and_b32 s16, s17, exec_lo
.LBB4_1100:                             ;   in Loop: Header=BB4_1013 Depth=2
	s_or_b32 exec_lo, exec_lo, s23
	s_and_saveexec_b32 s17, s16
	s_cbranch_execz .LBB4_1109
.LBB4_1101:                             ;   in Loop: Header=BB4_1013 Depth=2
	v_ashrrev_i32_e32 v49, 31, v39
	v_ashrrev_i32_e32 v55, 31, v48
	s_mov_b32 s16, exec_lo
	v_lshrrev_b32_e32 v49, 23, v49
	v_lshrrev_b32_e32 v55, 27, v55
	v_add_nc_u32_e32 v49, v39, v49
	v_ashrrev_i32_e32 v64, 9, v49
	v_sub_nc_u32_e32 v49, v64, v67
	v_cmpx_lt_i32_e32 0, v49
	s_cbranch_execz .LBB4_1105
; %bb.1102:                             ;   in Loop: Header=BB4_1013 Depth=2
	v_add_nc_u32_e32 v65, v48, v55
	v_lshlrev_b32_e32 v66, 9, v67
	s_mov_b32 s23, 0
	v_and_b32_e32 v65, 0xffffffe0, v65
	v_sub_nc_u32_e32 v65, v48, v65
	v_add3_u32 v65, v38, v65, v66
	v_ashrrev_i32_e32 v66, 31, v65
.LBB4_1103:                             ;   Parent Loop BB4_47 Depth=1
                                        ;     Parent Loop BB4_1013 Depth=2
                                        ; =>    This Inner Loop Header: Depth=3
	v_add_co_u32 v118, vcc_lo, v65, v8
	v_add_co_ci_u32_e64 v119, null, v66, v9, vcc_lo
	v_sub_nc_u32_e32 v49, v49, v71
	s_clause 0xf
	flat_load_ubyte v67, v[118:119] slc
	flat_load_ubyte v40, v[118:119] offset:32 slc
	flat_load_ubyte v41, v[118:119] offset:64 slc
	;; [unrolled: 1-line block ×15, first 2 shown]
	v_add_co_u32 v118, vcc_lo, v65, v10
	v_add_co_ci_u32_e64 v119, null, v66, v11, vcc_lo
	v_add_co_u32 v8, vcc_lo, v8, v86
	v_add_co_ci_u32_e64 v9, null, 0, v9, vcc_lo
	;; [unrolled: 2-line block ×3, first 2 shown]
	v_cmp_gt_i32_e32 vcc_lo, 1, v49
	s_waitcnt vmcnt(15) lgkmcnt(15)
	flat_store_byte v[118:119], v67 glc slc
	s_waitcnt vmcnt(14) lgkmcnt(15)
	flat_store_byte v[118:119], v40 offset:32 glc slc
	s_waitcnt vmcnt(13) lgkmcnt(15)
	flat_store_byte v[118:119], v41 offset:64 glc slc
	s_waitcnt vmcnt(12) lgkmcnt(15)
	flat_store_byte v[118:119], v42 offset:96 glc slc
	s_waitcnt vmcnt(11) lgkmcnt(15)
	flat_store_byte v[118:119], v43 offset:128 glc slc
	s_waitcnt vmcnt(10) lgkmcnt(15)
	flat_store_byte v[118:119], v44 offset:160 glc slc
	s_waitcnt vmcnt(9) lgkmcnt(15)
	flat_store_byte v[118:119], v45 offset:192 glc slc
	s_waitcnt vmcnt(8) lgkmcnt(15)
	flat_store_byte v[118:119], v46 offset:224 glc slc
	s_waitcnt vmcnt(7) lgkmcnt(15)
	flat_store_byte v[118:119], v47 offset:256 glc slc
	s_waitcnt vmcnt(6) lgkmcnt(15)
	flat_store_byte v[118:119], v56 offset:288 glc slc
	s_waitcnt vmcnt(5) lgkmcnt(15)
	flat_store_byte v[118:119], v57 offset:320 glc slc
	s_waitcnt vmcnt(4) lgkmcnt(15)
	flat_store_byte v[118:119], v58 offset:352 glc slc
	s_waitcnt vmcnt(3) lgkmcnt(15)
	flat_store_byte v[118:119], v59 offset:384 glc slc
	s_waitcnt vmcnt(2) lgkmcnt(15)
	flat_store_byte v[118:119], v60 offset:416 glc slc
	s_waitcnt vmcnt(1) lgkmcnt(15)
	flat_store_byte v[118:119], v61 offset:448 glc slc
	s_waitcnt vmcnt(0) lgkmcnt(15)
	flat_store_byte v[118:119], v62 offset:480 glc slc
	s_or_b32 s23, vcc_lo, s23
	s_andn2_b32 exec_lo, exec_lo, s23
	s_cbranch_execnz .LBB4_1103
; %bb.1104:                             ;   in Loop: Header=BB4_1013 Depth=2
	s_or_b32 exec_lo, exec_lo, s23
.LBB4_1105:                             ;   in Loop: Header=BB4_1013 Depth=2
	s_or_b32 exec_lo, exec_lo, s16
	v_lshlrev_b32_e32 v8, 9, v64
	v_cmp_ne_u32_e32 vcc_lo, v39, v8
	s_and_b32 exec_lo, exec_lo, vcc_lo
	s_cbranch_execz .LBB4_1109
; %bb.1106:                             ;   in Loop: Header=BB4_1013 Depth=2
	v_add_nc_u32_e32 v9, v48, v55
	v_lshlrev_b32_e32 v10, 5, v49
	v_and_b32_e32 v9, 0xffffffe0, v9
	v_sub_nc_u32_e32 v9, v48, v9
	v_sub_nc_u32_e32 v9, v9, v10
	v_add_nc_u32_e32 v11, v8, v9
	v_sub_nc_u32_e32 v10, v39, v11
	v_cmp_lt_i32_e32 vcc_lo, 0, v10
	s_and_b32 exec_lo, exec_lo, vcc_lo
	s_cbranch_execz .LBB4_1109
; %bb.1107:                             ;   in Loop: Header=BB4_1013 Depth=2
	s_trap 2
	ds_read_b64 v[8:9], v0
	v_add_nc_u32_e32 v11, v11, v38
	s_mov_b32 s23, 0
	v_ashrrev_i32_e32 v38, 31, v11
	.p2align	6
.LBB4_1108:                             ;   Parent Loop BB4_47 Depth=1
                                        ;     Parent Loop BB4_1013 Depth=2
                                        ; =>    This Inner Loop Header: Depth=3
	s_waitcnt lgkmcnt(0)
	v_add_co_u32 v48, vcc_lo, v8, v11
	v_add_co_ci_u32_e64 v49, null, v9, v38, vcc_lo
	v_sub_nc_u32_e32 v10, v10, v80
	v_add_co_u32 v11, s16, v11, v80
	flat_load_ubyte v39, v[48:49] slc
	v_add_co_ci_u32_e64 v38, null, 0, v38, s16
	v_cmp_gt_i32_e32 vcc_lo, 1, v10
	s_or_b32 s23, vcc_lo, s23
	s_waitcnt vmcnt(0) lgkmcnt(0)
	flat_store_byte v[48:49], v39 glc slc
	s_andn2_b32 exec_lo, exec_lo, s23
	s_cbranch_execnz .LBB4_1108
.LBB4_1109:                             ;   in Loop: Header=BB4_1013 Depth=2
	s_or_b32 exec_lo, exec_lo, s17
	v_cmp_lt_i32_e64 s16, 0, v54
	s_and_saveexec_b32 s17, s6
	s_cbranch_execz .LBB4_1084
.LBB4_1110:                             ;   in Loop: Header=BB4_1013 Depth=2
	s_and_saveexec_b32 s23, s29
	s_xor_b32 s23, exec_lo, s23
	s_cbranch_execz .LBB4_1125
; %bb.1111:                             ;   in Loop: Header=BB4_1013 Depth=2
	s_and_saveexec_b32 s61, s11
	s_cbranch_execz .LBB4_1124
; %bb.1112:                             ;   in Loop: Header=BB4_1013 Depth=2
	s_mov_b32 s63, exec_lo
	s_mov_b32 s62, exec_lo
	v_mbcnt_lo_u32_b32 v8, s63, 0
	s_waitcnt vmcnt(0) lgkmcnt(0)
	s_waitcnt_vscnt null, 0x0
	buffer_gl1_inv
	buffer_gl0_inv
	v_cmpx_eq_u32_e32 0, v8
	s_cbranch_execz .LBB4_1114
; %bb.1113:                             ;   in Loop: Header=BB4_1013 Depth=2
	s_bcnt1_i32_b32 s63, s63
	v_mov_b32_e32 v9, v2
	v_mov_b32_e32 v8, s63
	ds_add_u64 v0, v[8:9]
	s_trap 2
.LBB4_1114:                             ;   in Loop: Header=BB4_1013 Depth=2
	s_or_b32 exec_lo, exec_lo, s62
	s_trap 2
	ds_read_b64 v[8:9], v0
	s_waitcnt lgkmcnt(0)
	buffer_gl0_inv
	v_add_co_u32 v12, vcc_lo, v12, v71
	v_add_co_ci_u32_e64 v13, null, 0, v13, vcc_lo
	s_mov_b32 s62, exec_lo
	v_cmpx_lt_u64_e64 v[8:9], v[12:13]
	s_cbranch_execz .LBB4_1123
; %bb.1115:                             ;   in Loop: Header=BB4_1013 Depth=2
	s_mov_b32 s63, 0
	s_mov_b32 s74, 0
                                        ; implicit-def: $sgpr72
                                        ; implicit-def: $sgpr73
	s_inst_prefetch 0x1
	s_branch .LBB4_1117
	.p2align	6
.LBB4_1116:                             ;   in Loop: Header=BB4_1117 Depth=3
	s_or_b32 exec_lo, exec_lo, s76
	s_and_b32 s75, exec_lo, s77
	s_or_b32 s63, s75, s63
	s_andn2_b32 s72, s72, exec_lo
	s_and_b32 s75, s73, exec_lo
	s_or_b32 s72, s72, s75
	s_andn2_b32 exec_lo, exec_lo, s63
	s_cbranch_execz .LBB4_1121
.LBB4_1117:                             ;   Parent Loop BB4_47 Depth=1
                                        ;     Parent Loop BB4_1013 Depth=2
                                        ; =>    This Inner Loop Header: Depth=3
	s_add_i32 s74, s74, 1
	s_cmpk_lg_i32 s74, 0x2710
	s_cselect_b32 s75, -1, 0
	s_and_b32 vcc_lo, exec_lo, s75
	s_cbranch_vccz .LBB4_1119
; %bb.1118:                             ;   in Loop: Header=BB4_1117 Depth=3
	s_mov_b32 s77, -1
	s_or_b32 s73, s73, exec_lo
	s_and_saveexec_b32 s76, s75
	s_cbranch_execz .LBB4_1116
	s_branch .LBB4_1120
	.p2align	6
.LBB4_1119:                             ;   in Loop: Header=BB4_1117 Depth=3
	s_trap 2
	ds_read_b64 v[8:9], v0
	s_andn2_b32 s75, s75, exec_lo
	s_mov_b32 s74, 0
	s_waitcnt lgkmcnt(0)
	flat_load_dword v8, v[8:9] glc dlc
	s_waitcnt vmcnt(0) lgkmcnt(0)
	buffer_gl1_inv
	buffer_gl0_inv
	v_cmp_eq_u32_e32 vcc_lo, 0, v8
	s_and_b32 s76, vcc_lo, exec_lo
	s_or_b32 s75, s75, s76
	s_mov_b32 s77, -1
	s_or_b32 s73, s73, exec_lo
	s_and_saveexec_b32 s76, s75
	s_cbranch_execz .LBB4_1116
.LBB4_1120:                             ;   in Loop: Header=BB4_1117 Depth=3
	s_sleep 1
	s_trap 2
	ds_read_b64 v[8:9], v0
	s_waitcnt lgkmcnt(0)
	buffer_gl0_inv
	s_andn2_b32 s73, s73, exec_lo
	v_cmp_ge_u64_e32 vcc_lo, v[8:9], v[12:13]
	s_orn2_b32 s77, vcc_lo, exec_lo
	s_branch .LBB4_1116
.LBB4_1121:                             ;   in Loop: Header=BB4_1013 Depth=2
	s_inst_prefetch 0x2
	s_or_b32 exec_lo, exec_lo, s63
	s_and_saveexec_b32 s63, s72
	s_xor_b32 s63, exec_lo, s63
	s_cbranch_execz .LBB4_1123
; %bb.1122:                             ;   in Loop: Header=BB4_1013 Depth=2
	ds_write_b32 v0, v81
	s_trap 2
.LBB4_1123:                             ;   in Loop: Header=BB4_1013 Depth=2
	s_or_b32 exec_lo, exec_lo, s62
	;;#ASMSTART
	s_wakeup
	;;#ASMEND
.LBB4_1124:                             ;   in Loop: Header=BB4_1013 Depth=2
	s_or_b32 exec_lo, exec_lo, s61
.LBB4_1125:                             ;   in Loop: Header=BB4_1013 Depth=2
	s_andn2_saveexec_b32 s23, s23
	s_cbranch_execz .LBB4_1127
; %bb.1126:                             ;   in Loop: Header=BB4_1013 Depth=2
	s_waitcnt vmcnt(0) lgkmcnt(0)
	s_waitcnt_vscnt null, 0x0
	buffer_gl1_inv
	buffer_gl0_inv
	s_barrier
.LBB4_1127:                             ;   in Loop: Header=BB4_1013 Depth=2
	s_or_b32 exec_lo, exec_lo, s23
	s_or_b32 exec_lo, exec_lo, s17
	s_and_saveexec_b32 s17, s13
	s_xor_b32 s17, exec_lo, s17
	s_cbranch_execnz .LBB4_1085
.LBB4_1128:                             ;   in Loop: Header=BB4_1013 Depth=2
	s_andn2_saveexec_b32 s16, s17
	s_cbranch_execz .LBB4_1147
.LBB4_1129:                             ;   in Loop: Header=BB4_1013 Depth=2
	s_and_saveexec_b32 s17, s29
	s_xor_b32 s17, exec_lo, s17
	s_cbranch_execz .LBB4_1144
; %bb.1130:                             ;   in Loop: Header=BB4_1013 Depth=2
	s_and_saveexec_b32 s23, s11
	s_cbranch_execz .LBB4_1143
; %bb.1131:                             ;   in Loop: Header=BB4_1013 Depth=2
	s_mov_b32 s62, exec_lo
	s_mov_b32 s61, exec_lo
	v_mbcnt_lo_u32_b32 v8, s62, 0
	;;#ASMSTART
	s_waitcnt lgkmcnt(0) vmcnt(0)
	;;#ASMEND
	v_cmpx_eq_u32_e32 0, v8
	s_cbranch_execz .LBB4_1133
; %bb.1132:                             ;   in Loop: Header=BB4_1013 Depth=2
	s_bcnt1_i32_b32 s62, s62
	v_mov_b32_e32 v9, v2
	v_mov_b32_e32 v8, s62
	s_waitcnt vmcnt(0) lgkmcnt(0)
	s_waitcnt_vscnt null, 0x0
	ds_add_u64 v0, v[8:9]
	s_trap 2
.LBB4_1133:                             ;   in Loop: Header=BB4_1013 Depth=2
	s_or_b32 exec_lo, exec_lo, s61
	s_trap 2
	ds_read_b64 v[8:9], v0
	s_waitcnt vmcnt(0) lgkmcnt(0)
	buffer_gl0_inv
	v_add_co_u32 v12, vcc_lo, v12, v71
	v_add_co_ci_u32_e64 v13, null, 0, v13, vcc_lo
	s_mov_b32 s61, exec_lo
	v_cmpx_lt_u64_e64 v[8:9], v[12:13]
	s_cbranch_execz .LBB4_1142
; %bb.1134:                             ;   in Loop: Header=BB4_1013 Depth=2
	s_mov_b32 s62, 0
	s_mov_b32 s73, 0
                                        ; implicit-def: $sgpr63
                                        ; implicit-def: $sgpr72
	s_inst_prefetch 0x1
	s_branch .LBB4_1136
	.p2align	6
.LBB4_1135:                             ;   in Loop: Header=BB4_1136 Depth=3
	s_or_b32 exec_lo, exec_lo, s75
	s_and_b32 s74, exec_lo, s76
	s_or_b32 s62, s74, s62
	s_andn2_b32 s63, s63, exec_lo
	s_and_b32 s74, s72, exec_lo
	s_or_b32 s63, s63, s74
	s_andn2_b32 exec_lo, exec_lo, s62
	s_cbranch_execz .LBB4_1140
.LBB4_1136:                             ;   Parent Loop BB4_47 Depth=1
                                        ;     Parent Loop BB4_1013 Depth=2
                                        ; =>    This Inner Loop Header: Depth=3
	s_add_i32 s73, s73, 1
	s_cmpk_lg_i32 s73, 0x2710
	s_cselect_b32 s74, -1, 0
	s_and_b32 vcc_lo, exec_lo, s74
	s_cbranch_vccz .LBB4_1138
; %bb.1137:                             ;   in Loop: Header=BB4_1136 Depth=3
	s_mov_b32 s76, -1
	s_or_b32 s72, s72, exec_lo
	s_and_saveexec_b32 s75, s74
	s_cbranch_execz .LBB4_1135
	s_branch .LBB4_1139
	.p2align	6
.LBB4_1138:                             ;   in Loop: Header=BB4_1136 Depth=3
	s_trap 2
	ds_read_b64 v[8:9], v0
	s_andn2_b32 s74, s74, exec_lo
	s_mov_b32 s73, 0
	s_waitcnt lgkmcnt(0)
	s_waitcnt_vscnt null, 0x0
	flat_load_dword v8, v[8:9] glc dlc
	s_waitcnt vmcnt(0) lgkmcnt(0)
	buffer_gl1_inv
	buffer_gl0_inv
	v_cmp_eq_u32_e32 vcc_lo, 0, v8
	s_and_b32 s75, vcc_lo, exec_lo
	s_or_b32 s74, s74, s75
	s_mov_b32 s76, -1
	s_or_b32 s72, s72, exec_lo
	s_and_saveexec_b32 s75, s74
	s_cbranch_execz .LBB4_1135
.LBB4_1139:                             ;   in Loop: Header=BB4_1136 Depth=3
	s_sleep 1
	s_trap 2
	ds_read_b64 v[8:9], v0
	s_waitcnt lgkmcnt(0)
	buffer_gl0_inv
	s_andn2_b32 s72, s72, exec_lo
	v_cmp_ge_u64_e32 vcc_lo, v[8:9], v[12:13]
	s_orn2_b32 s76, vcc_lo, exec_lo
	s_branch .LBB4_1135
.LBB4_1140:                             ;   in Loop: Header=BB4_1013 Depth=2
	s_inst_prefetch 0x2
	s_or_b32 exec_lo, exec_lo, s62
	s_and_saveexec_b32 s62, s63
	s_xor_b32 s62, exec_lo, s62
	s_cbranch_execz .LBB4_1142
; %bb.1141:                             ;   in Loop: Header=BB4_1013 Depth=2
	ds_write_b32 v0, v81
	s_trap 2
.LBB4_1142:                             ;   in Loop: Header=BB4_1013 Depth=2
	s_or_b32 exec_lo, exec_lo, s61
	;;#ASMSTART
	s_wakeup
	;;#ASMEND
.LBB4_1143:                             ;   in Loop: Header=BB4_1013 Depth=2
	s_or_b32 exec_lo, exec_lo, s23
.LBB4_1144:                             ;   in Loop: Header=BB4_1013 Depth=2
	s_andn2_saveexec_b32 s17, s17
	s_cbranch_execz .LBB4_1146
; %bb.1145:                             ;   in Loop: Header=BB4_1013 Depth=2
	;;#ASMSTART
	s_waitcnt lgkmcnt(0) vmcnt(0)
	;;#ASMEND
	s_barrier
.LBB4_1146:                             ;   in Loop: Header=BB4_1013 Depth=2
	s_or_b32 exec_lo, exec_lo, s17
.LBB4_1147:                             ;   in Loop: Header=BB4_1013 Depth=2
	s_or_b32 exec_lo, exec_lo, s16
	v_and_b32_e32 v8, 32, v69
	s_mov_b32 s16, exec_lo
	v_cmpx_ne_u32_e32 0, v8
	s_cbranch_execz .LBB4_1012
; %bb.1148:                             ;   in Loop: Header=BB4_1013 Depth=2
	v_add_co_u32 v36, vcc_lo, v36, 2
	v_add_co_ci_u32_e64 v37, null, 0, v37, vcc_lo
	s_waitcnt vmcnt(0) lgkmcnt(0)
	s_waitcnt_vscnt null, 0x0
	flat_store_dwordx2 v[20:21], v[36:37]
	s_branch .LBB4_1012
.LBB4_1149:                             ;   in Loop: Header=BB4_47 Depth=1
	s_or_b32 exec_lo, exec_lo, s19
.LBB4_1150:                             ;   in Loop: Header=BB4_47 Depth=1
	s_or_b32 exec_lo, exec_lo, s18
	s_mov_b32 s17, exec_lo
	v_cmpx_gt_i32_e32 2, v10
	s_cbranch_execz .LBB4_46
; %bb.1151:                             ;   in Loop: Header=BB4_47 Depth=1
	v_cmp_eq_u32_e64 s19, 0, v10
	s_mov_b32 s18, 0
	s_branch .LBB4_1153
.LBB4_1152:                             ;   in Loop: Header=BB4_1153 Depth=2
	s_or_b32 exec_lo, exec_lo, s16
	v_add_nc_u32_e32 v51, v50, v51
	s_mov_b32 s19, 0
	s_andn2_b32 exec_lo, exec_lo, s18
	s_cbranch_execz .LBB4_45
.LBB4_1153:                             ;   Parent Loop BB4_47 Depth=1
                                        ; =>  This Loop Header: Depth=2
                                        ;       Child Loop BB4_1159 Depth 3
                                        ;       Child Loop BB4_1183 Depth 3
	;; [unrolled: 1-line block ×3, first 2 shown]
	v_and_b32_e32 v8, 4, v69
	s_mov_b32 s21, exec_lo
	v_cmpx_ne_u32_e32 0, v8
	s_cbranch_execz .LBB4_1175
; %bb.1154:                             ;   in Loop: Header=BB4_1153 Depth=2
	v_add_co_u32 v8, vcc_lo, v36, 2
	v_add_co_ci_u32_e64 v9, null, 0, v37, vcc_lo
	s_mov_b32 s22, exec_lo
	s_waitcnt vmcnt(0) lgkmcnt(1)
	v_cmpx_lt_u64_e64 v[26:27], v[8:9]
	s_cbranch_execz .LBB4_1166
; %bb.1155:                             ;   in Loop: Header=BB4_1153 Depth=2
	v_and_b32_e32 v10, 64, v69
	s_mov_b32 s23, 0
	s_mov_b32 s72, 0
                                        ; implicit-def: $sgpr61
                                        ; implicit-def: $sgpr62
                                        ; implicit-def: $sgpr63
	v_cmp_eq_u32_e32 vcc_lo, 0, v10
	s_branch .LBB4_1159
.LBB4_1156:                             ;   in Loop: Header=BB4_1159 Depth=3
	s_waitcnt vmcnt(0) lgkmcnt(0)
	v_cmp_ge_u64_e64 s16, v[26:27], v[8:9]
	s_or_b32 s75, s75, exec_lo
	s_orn2_b32 s74, s16, exec_lo
.LBB4_1157:                             ;   in Loop: Header=BB4_1159 Depth=3
	s_or_b32 exec_lo, exec_lo, s77
	s_andn2_b32 s16, s63, exec_lo
	s_and_b32 s63, s75, exec_lo
	s_andn2_b32 s62, s62, exec_lo
	s_and_b32 s74, s74, exec_lo
	s_or_b32 s63, s16, s63
	s_or_b32 s62, s62, s74
.LBB4_1158:                             ;   in Loop: Header=BB4_1159 Depth=3
	s_or_b32 exec_lo, exec_lo, s73
	s_and_b32 s16, exec_lo, s62
	s_or_b32 s23, s16, s23
	s_andn2_b32 s16, s61, exec_lo
	s_and_b32 s61, s63, exec_lo
	s_or_b32 s61, s16, s61
	s_andn2_b32 exec_lo, exec_lo, s23
	s_cbranch_execz .LBB4_1163
.LBB4_1159:                             ;   Parent Loop BB4_47 Depth=1
                                        ;     Parent Loop BB4_1153 Depth=2
                                        ; =>    This Inner Loop Header: Depth=3
	s_sleep 1
	s_waitcnt vmcnt(0) lgkmcnt(0)
	flat_load_dwordx2 v[26:27], v[20:21] glc dlc
	s_or_b32 s63, s63, exec_lo
	s_or_b32 s62, s62, exec_lo
                                        ; implicit-def: $vgpr10
	s_and_saveexec_b32 s73, vcc_lo
	s_cbranch_execz .LBB4_1158
; %bb.1160:                             ;   in Loop: Header=BB4_1159 Depth=3
	s_cmpk_lt_i32 s72, 0x270f
	s_mov_b32 s74, -1
	s_cselect_b32 s76, -1, 0
	s_cmpk_gt_i32 s72, 0x270e
	s_cbranch_scc0 .LBB4_1162
; %bb.1161:                             ;   in Loop: Header=BB4_1159 Depth=3
	s_trap 2
	ds_read_b64 v[10:11], v0
	s_andn2_b32 s72, s76, exec_lo
	s_mov_b32 s75, 0
	s_waitcnt vmcnt(0) lgkmcnt(0)
	s_waitcnt_vscnt null, 0x0
	flat_load_dword v10, v[10:11] glc dlc
	s_waitcnt vmcnt(0) lgkmcnt(0)
	buffer_gl1_inv
	buffer_gl0_inv
	v_cmp_eq_u32_e64 s16, 0, v10
	s_and_b32 s16, s16, exec_lo
	s_or_b32 s76, s72, s16
	s_mov_b32 s72, 0
	s_and_saveexec_b32 s77, s76
	s_cbranch_execz .LBB4_1157
	s_branch .LBB4_1156
.LBB4_1162:                             ;   in Loop: Header=BB4_1159 Depth=3
	s_add_i32 s72, s72, 1
	s_mov_b32 s75, -1
                                        ; implicit-def: $vgpr10
	s_and_saveexec_b32 s77, s76
	s_cbranch_execz .LBB4_1157
	s_branch .LBB4_1156
.LBB4_1163:                             ;   in Loop: Header=BB4_1153 Depth=2
	s_or_b32 exec_lo, exec_lo, s23
	s_xor_b32 s16, s61, -1
	s_and_saveexec_b32 s23, s16
	s_xor_b32 s16, exec_lo, s23
	s_cbranch_execz .LBB4_1165
; %bb.1164:                             ;   in Loop: Header=BB4_1153 Depth=2
	v_or_b32_e32 v69, 64, v69
	s_waitcnt vmcnt(0) lgkmcnt(0)
	s_waitcnt_vscnt null, 0x0
	ds_write_b32 v0, v10
	s_trap 2
.LBB4_1165:                             ;   in Loop: Header=BB4_1153 Depth=2
	s_or_b32 exec_lo, exec_lo, s16
.LBB4_1166:                             ;   in Loop: Header=BB4_1153 Depth=2
	s_or_b32 exec_lo, exec_lo, s22
	v_and_b32_e32 v10, 0x100, v69
	v_and_b32_e32 v38, 7, v36
	s_mov_b32 s16, -1
	;;#ASMSTART
	s_wakeup
	;;#ASMEND
	v_cmp_ne_u32_e32 vcc_lo, 0, v10
                                        ; implicit-def: $vgpr10_vgpr11
	s_and_saveexec_b32 s22, vcc_lo
	s_cbranch_execz .LBB4_1170
; %bb.1167:                             ;   in Loop: Header=BB4_1153 Depth=2
	v_mad_u64_u32 v[36:37], null, v38, 24, v[6:7]
	flat_load_dword v10, v[36:37]
	s_waitcnt vmcnt(0) lgkmcnt(0)
	v_cmp_eq_u32_e64 s16, 1, v10
	v_cmp_ne_u32_e32 vcc_lo, 1, v10
                                        ; implicit-def: $vgpr10_vgpr11
	s_and_saveexec_b32 s23, s16
	s_cbranch_execz .LBB4_1169
; %bb.1168:                             ;   in Loop: Header=BB4_1153 Depth=2
	flat_load_dword v10, v[36:37] offset:4 glc dlc
	s_waitcnt vmcnt(0) lgkmcnt(0)
	v_ashrrev_i32_e32 v11, 31, v10
.LBB4_1169:                             ;   in Loop: Header=BB4_1153 Depth=2
	s_or_b32 exec_lo, exec_lo, s23
	s_orn2_b32 s16, vcc_lo, exec_lo
.LBB4_1170:                             ;   in Loop: Header=BB4_1153 Depth=2
	s_or_b32 exec_lo, exec_lo, s22
	s_and_saveexec_b32 s22, s16
; %bb.1171:                             ;   in Loop: Header=BB4_1153 Depth=2
	v_mad_i64_i32 v[10:11], null, v38, v70, 0
; %bb.1172:                             ;   in Loop: Header=BB4_1153 Depth=2
	s_or_b32 exec_lo, exec_lo, s22
	v_add_co_u32 v10, vcc_lo, v22, v10
	v_and_b32_e32 v36, 0x2000, v69
	v_add_co_ci_u32_e64 v11, null, v23, v11, vcc_lo
	s_mov_b32 s16, exec_lo
	ds_write_b64 v0, v[10:11] offset:720
	v_cmpx_ne_u32_e32 0, v36
	s_cbranch_execz .LBB4_1174
; %bb.1173:                             ;   in Loop: Header=BB4_1153 Depth=2
	ds_read_b64 v[10:11], v0 offset:872
	s_waitcnt lgkmcnt(0)
	v_add_co_u32 v10, vcc_lo, v10, 1
	v_add_co_ci_u32_e64 v11, null, 0, v11, vcc_lo
	ds_write_b64 v0, v[10:11] offset:872
.LBB4_1174:                             ;   in Loop: Header=BB4_1153 Depth=2
	s_or_b32 exec_lo, exec_lo, s16
	v_mov_b32_e32 v37, v9
	v_mov_b32_e32 v36, v8
.LBB4_1175:                             ;   in Loop: Header=BB4_1153 Depth=2
	s_or_b32 exec_lo, exec_lo, s21
	s_xor_b32 s16, s19, -1
	s_and_b32 s16, exec_lo, s16
	s_or_b32 s18, s16, s18
	s_and_saveexec_b32 s16, s6
	s_cbranch_execz .LBB4_1194
; %bb.1176:                             ;   in Loop: Header=BB4_1153 Depth=2
	s_and_saveexec_b32 s19, s29
	s_xor_b32 s19, exec_lo, s19
	s_cbranch_execz .LBB4_1191
; %bb.1177:                             ;   in Loop: Header=BB4_1153 Depth=2
	s_and_saveexec_b32 s21, s11
	s_cbranch_execz .LBB4_1190
; %bb.1178:                             ;   in Loop: Header=BB4_1153 Depth=2
	s_mov_b32 s23, exec_lo
	s_mov_b32 s22, exec_lo
	v_mbcnt_lo_u32_b32 v8, s23, 0
	s_waitcnt vmcnt(0) lgkmcnt(0)
	s_waitcnt_vscnt null, 0x0
	buffer_gl1_inv
	buffer_gl0_inv
	v_cmpx_eq_u32_e32 0, v8
	s_cbranch_execz .LBB4_1180
; %bb.1179:                             ;   in Loop: Header=BB4_1153 Depth=2
	s_bcnt1_i32_b32 s23, s23
	v_mov_b32_e32 v9, v2
	v_mov_b32_e32 v8, s23
	ds_add_u64 v0, v[8:9]
	s_trap 2
.LBB4_1180:                             ;   in Loop: Header=BB4_1153 Depth=2
	s_or_b32 exec_lo, exec_lo, s22
	s_trap 2
	ds_read_b64 v[8:9], v0
	s_waitcnt lgkmcnt(0)
	buffer_gl0_inv
	v_add_co_u32 v12, vcc_lo, v12, v71
	v_add_co_ci_u32_e64 v13, null, 0, v13, vcc_lo
	s_mov_b32 s22, exec_lo
	v_cmpx_lt_u64_e64 v[8:9], v[12:13]
	s_cbranch_execz .LBB4_1189
; %bb.1181:                             ;   in Loop: Header=BB4_1153 Depth=2
	s_mov_b32 s23, 0
	s_mov_b32 s63, 0
                                        ; implicit-def: $sgpr61
                                        ; implicit-def: $sgpr62
	s_inst_prefetch 0x1
	s_branch .LBB4_1183
	.p2align	6
.LBB4_1182:                             ;   in Loop: Header=BB4_1183 Depth=3
	s_or_b32 exec_lo, exec_lo, s73
	s_and_b32 s72, exec_lo, s74
	s_or_b32 s23, s72, s23
	s_andn2_b32 s61, s61, exec_lo
	s_and_b32 s72, s62, exec_lo
	s_or_b32 s61, s61, s72
	s_andn2_b32 exec_lo, exec_lo, s23
	s_cbranch_execz .LBB4_1187
.LBB4_1183:                             ;   Parent Loop BB4_47 Depth=1
                                        ;     Parent Loop BB4_1153 Depth=2
                                        ; =>    This Inner Loop Header: Depth=3
	s_add_i32 s63, s63, 1
	s_cmpk_lg_i32 s63, 0x2710
	s_cselect_b32 s72, -1, 0
	s_and_b32 vcc_lo, exec_lo, s72
	s_cbranch_vccz .LBB4_1185
; %bb.1184:                             ;   in Loop: Header=BB4_1183 Depth=3
	s_mov_b32 s74, -1
	s_or_b32 s62, s62, exec_lo
	s_and_saveexec_b32 s73, s72
	s_cbranch_execz .LBB4_1182
	s_branch .LBB4_1186
	.p2align	6
.LBB4_1185:                             ;   in Loop: Header=BB4_1183 Depth=3
	s_trap 2
	ds_read_b64 v[8:9], v0
	s_andn2_b32 s72, s72, exec_lo
	s_mov_b32 s63, 0
	s_waitcnt lgkmcnt(0)
	flat_load_dword v8, v[8:9] glc dlc
	s_waitcnt vmcnt(0) lgkmcnt(0)
	buffer_gl1_inv
	buffer_gl0_inv
	v_cmp_eq_u32_e32 vcc_lo, 0, v8
	s_and_b32 s73, vcc_lo, exec_lo
	s_or_b32 s72, s72, s73
	s_mov_b32 s74, -1
	s_or_b32 s62, s62, exec_lo
	s_and_saveexec_b32 s73, s72
	s_cbranch_execz .LBB4_1182
.LBB4_1186:                             ;   in Loop: Header=BB4_1183 Depth=3
	s_sleep 1
	s_trap 2
	ds_read_b64 v[8:9], v0
	s_waitcnt lgkmcnt(0)
	buffer_gl0_inv
	s_andn2_b32 s62, s62, exec_lo
	v_cmp_ge_u64_e32 vcc_lo, v[8:9], v[12:13]
	s_orn2_b32 s74, vcc_lo, exec_lo
	s_branch .LBB4_1182
.LBB4_1187:                             ;   in Loop: Header=BB4_1153 Depth=2
	s_inst_prefetch 0x2
	s_or_b32 exec_lo, exec_lo, s23
	s_and_saveexec_b32 s23, s61
	s_xor_b32 s23, exec_lo, s23
	s_cbranch_execz .LBB4_1189
; %bb.1188:                             ;   in Loop: Header=BB4_1153 Depth=2
	ds_write_b32 v0, v81
	s_trap 2
.LBB4_1189:                             ;   in Loop: Header=BB4_1153 Depth=2
	s_or_b32 exec_lo, exec_lo, s22
	;;#ASMSTART
	s_wakeup
	;;#ASMEND
.LBB4_1190:                             ;   in Loop: Header=BB4_1153 Depth=2
	s_or_b32 exec_lo, exec_lo, s21
.LBB4_1191:                             ;   in Loop: Header=BB4_1153 Depth=2
	s_andn2_saveexec_b32 s19, s19
	s_cbranch_execz .LBB4_1193
; %bb.1192:                             ;   in Loop: Header=BB4_1153 Depth=2
	s_waitcnt vmcnt(0) lgkmcnt(0)
	s_waitcnt_vscnt null, 0x0
	buffer_gl1_inv
	buffer_gl0_inv
	s_barrier
.LBB4_1193:                             ;   in Loop: Header=BB4_1153 Depth=2
	s_or_b32 exec_lo, exec_lo, s19
.LBB4_1194:                             ;   in Loop: Header=BB4_1153 Depth=2
	s_or_b32 exec_lo, exec_lo, s16
	v_sub_nc_u32_e32 v8, v3, v51
	v_min_i32_e32 v50, v50, v8
	s_and_saveexec_b32 s16, s13
	s_xor_b32 s19, exec_lo, s16
	s_cbranch_execz .LBB4_1198
; %bb.1195:                             ;   in Loop: Header=BB4_1153 Depth=2
	s_trap 2
	ds_read_b32 v8, v0
	v_cmp_lt_i32_e32 vcc_lo, 0, v50
	s_waitcnt lgkmcnt(0)
	v_readfirstlane_b32 s16, v8
	v_and_b32_e32 v8, 16, v69
	s_cmp_eq_u32 s16, 0
	v_cmp_ne_u32_e64 s16, 0, v8
	s_cselect_b32 s21, -1, 0
	s_and_b32 s21, vcc_lo, s21
	s_and_b32 s21, s16, s21
	s_and_saveexec_b32 s16, s21
	s_cbranch_execz .LBB4_1197
; %bb.1196:                             ;   in Loop: Header=BB4_1153 Depth=2
	s_waitcnt vmcnt(0)
	s_waitcnt_vscnt null, 0x0
	buffer_gl1_inv
	buffer_gl0_inv
.LBB4_1197:                             ;   in Loop: Header=BB4_1153 Depth=2
	s_or_b32 exec_lo, exec_lo, s16
.LBB4_1198:                             ;   in Loop: Header=BB4_1153 Depth=2
	s_andn2_saveexec_b32 s16, s19
	s_cbranch_execz .LBB4_1217
; %bb.1199:                             ;   in Loop: Header=BB4_1153 Depth=2
	s_and_saveexec_b32 s19, s29
	s_xor_b32 s19, exec_lo, s19
	s_cbranch_execz .LBB4_1214
; %bb.1200:                             ;   in Loop: Header=BB4_1153 Depth=2
	s_and_saveexec_b32 s21, s11
	s_cbranch_execz .LBB4_1213
; %bb.1201:                             ;   in Loop: Header=BB4_1153 Depth=2
	s_mov_b32 s23, exec_lo
	s_mov_b32 s22, exec_lo
	v_mbcnt_lo_u32_b32 v8, s23, 0
	;;#ASMSTART
	s_waitcnt lgkmcnt(0) vmcnt(0)
	;;#ASMEND
	v_cmpx_eq_u32_e32 0, v8
	s_cbranch_execz .LBB4_1203
; %bb.1202:                             ;   in Loop: Header=BB4_1153 Depth=2
	s_bcnt1_i32_b32 s23, s23
	v_mov_b32_e32 v9, v2
	v_mov_b32_e32 v8, s23
	s_waitcnt vmcnt(0) lgkmcnt(0)
	s_waitcnt_vscnt null, 0x0
	ds_add_u64 v0, v[8:9]
	s_trap 2
.LBB4_1203:                             ;   in Loop: Header=BB4_1153 Depth=2
	s_or_b32 exec_lo, exec_lo, s22
	s_trap 2
	ds_read_b64 v[8:9], v0
	s_waitcnt vmcnt(0) lgkmcnt(0)
	buffer_gl0_inv
	v_add_co_u32 v12, vcc_lo, v12, v71
	v_add_co_ci_u32_e64 v13, null, 0, v13, vcc_lo
	s_mov_b32 s22, exec_lo
	v_cmpx_lt_u64_e64 v[8:9], v[12:13]
	s_cbranch_execz .LBB4_1212
; %bb.1204:                             ;   in Loop: Header=BB4_1153 Depth=2
	s_mov_b32 s23, 0
	s_mov_b32 s63, 0
                                        ; implicit-def: $sgpr61
                                        ; implicit-def: $sgpr62
	s_inst_prefetch 0x1
	s_branch .LBB4_1206
	.p2align	6
.LBB4_1205:                             ;   in Loop: Header=BB4_1206 Depth=3
	s_or_b32 exec_lo, exec_lo, s73
	s_and_b32 s72, exec_lo, s74
	s_or_b32 s23, s72, s23
	s_andn2_b32 s61, s61, exec_lo
	s_and_b32 s72, s62, exec_lo
	s_or_b32 s61, s61, s72
	s_andn2_b32 exec_lo, exec_lo, s23
	s_cbranch_execz .LBB4_1210
.LBB4_1206:                             ;   Parent Loop BB4_47 Depth=1
                                        ;     Parent Loop BB4_1153 Depth=2
                                        ; =>    This Inner Loop Header: Depth=3
	s_add_i32 s63, s63, 1
	s_cmpk_lg_i32 s63, 0x2710
	s_cselect_b32 s72, -1, 0
	s_and_b32 vcc_lo, exec_lo, s72
	s_cbranch_vccz .LBB4_1208
; %bb.1207:                             ;   in Loop: Header=BB4_1206 Depth=3
	s_mov_b32 s74, -1
	s_or_b32 s62, s62, exec_lo
	s_and_saveexec_b32 s73, s72
	s_cbranch_execz .LBB4_1205
	s_branch .LBB4_1209
	.p2align	6
.LBB4_1208:                             ;   in Loop: Header=BB4_1206 Depth=3
	s_trap 2
	ds_read_b64 v[8:9], v0
	s_andn2_b32 s72, s72, exec_lo
	s_mov_b32 s63, 0
	s_waitcnt lgkmcnt(0)
	s_waitcnt_vscnt null, 0x0
	flat_load_dword v8, v[8:9] glc dlc
	s_waitcnt vmcnt(0) lgkmcnt(0)
	buffer_gl1_inv
	buffer_gl0_inv
	v_cmp_eq_u32_e32 vcc_lo, 0, v8
	s_and_b32 s73, vcc_lo, exec_lo
	s_or_b32 s72, s72, s73
	s_mov_b32 s74, -1
	s_or_b32 s62, s62, exec_lo
	s_and_saveexec_b32 s73, s72
	s_cbranch_execz .LBB4_1205
.LBB4_1209:                             ;   in Loop: Header=BB4_1206 Depth=3
	s_sleep 1
	s_trap 2
	ds_read_b64 v[8:9], v0
	s_waitcnt lgkmcnt(0)
	buffer_gl0_inv
	s_andn2_b32 s62, s62, exec_lo
	v_cmp_ge_u64_e32 vcc_lo, v[8:9], v[12:13]
	s_orn2_b32 s74, vcc_lo, exec_lo
	s_branch .LBB4_1205
.LBB4_1210:                             ;   in Loop: Header=BB4_1153 Depth=2
	s_inst_prefetch 0x2
	s_or_b32 exec_lo, exec_lo, s23
	s_and_saveexec_b32 s23, s61
	s_xor_b32 s23, exec_lo, s23
	s_cbranch_execz .LBB4_1212
; %bb.1211:                             ;   in Loop: Header=BB4_1153 Depth=2
	ds_write_b32 v0, v81
	s_trap 2
.LBB4_1212:                             ;   in Loop: Header=BB4_1153 Depth=2
	s_or_b32 exec_lo, exec_lo, s22
	;;#ASMSTART
	s_wakeup
	;;#ASMEND
.LBB4_1213:                             ;   in Loop: Header=BB4_1153 Depth=2
	s_or_b32 exec_lo, exec_lo, s21
.LBB4_1214:                             ;   in Loop: Header=BB4_1153 Depth=2
	s_andn2_saveexec_b32 s19, s19
	s_cbranch_execz .LBB4_1216
; %bb.1215:                             ;   in Loop: Header=BB4_1153 Depth=2
	;;#ASMSTART
	s_waitcnt lgkmcnt(0) vmcnt(0)
	;;#ASMEND
	s_barrier
.LBB4_1216:                             ;   in Loop: Header=BB4_1153 Depth=2
	s_or_b32 exec_lo, exec_lo, s19
.LBB4_1217:                             ;   in Loop: Header=BB4_1153 Depth=2
	s_or_b32 exec_lo, exec_lo, s16
	v_and_b32_e32 v8, 32, v69
	s_mov_b32 s16, exec_lo
	v_cmpx_ne_u32_e32 0, v8
	s_cbranch_execz .LBB4_1152
; %bb.1218:                             ;   in Loop: Header=BB4_1153 Depth=2
	v_add_co_u32 v36, vcc_lo, v36, 2
	v_add_co_ci_u32_e64 v37, null, 0, v37, vcc_lo
	s_waitcnt vmcnt(0) lgkmcnt(0)
	s_waitcnt_vscnt null, 0x0
	flat_store_dwordx2 v[20:21], v[36:37]
	s_branch .LBB4_1152
.LBB4_1219:
	s_or_b32 exec_lo, exec_lo, s27
.LBB4_1220:
	s_or_b32 exec_lo, exec_lo, s26
	v_and_b32_e32 v0, 0x800, v69
	s_mov_b32 s5, exec_lo
	v_cmpx_eq_u32_e32 0, v0
	s_cbranch_execz .LBB4_1253
; %bb.1221:
	v_and_b32_e32 v0, 48, v69
	s_mov_b32 s4, exec_lo
	v_cmpx_ne_u32_e32 0, v0
	s_cbranch_execz .LBB4_1223
; %bb.1222:
	flat_store_dwordx2 v[18:19], v[36:37] offset:104
.LBB4_1223:
	s_or_b32 exec_lo, exec_lo, s4
	v_and_b32_e32 v0, 0x88, v69
	s_mov_b32 s6, exec_lo
	v_cmpx_eq_u32_e32 0x88, v0
	s_cbranch_execz .LBB4_1233
; %bb.1224:
	v_add_nc_u32_e32 v0, 6, v36
	s_mov_b32 s7, 0
	v_and_b32_e32 v0, 7, v0
	v_mad_u64_u32 v[2:3], null, v0, 24, v[6:7]
	v_and_b32_e32 v0, 64, v69
	v_cmp_eq_u32_e64 s4, 0, v0
	flat_load_dwordx2 v[4:5], v[2:3] offset:8 glc dlc
	s_waitcnt vmcnt(0) lgkmcnt(0)
	v_cmp_ne_u64_e32 vcc_lo, -1, v[4:5]
	s_and_b32 s4, vcc_lo, s4
	s_and_b32 exec_lo, exec_lo, s4
	s_cbranch_execz .LBB4_1233
; %bb.1225:
	s_mov_b32 s11, 0
                                        ; implicit-def: $sgpr4
                                        ; implicit-def: $sgpr10
	s_inst_prefetch 0x1
	s_branch .LBB4_1228
	.p2align	6
.LBB4_1226:                             ;   in Loop: Header=BB4_1228 Depth=1
	flat_load_dwordx2 v[4:5], v[2:3] offset:8 glc dlc
	s_waitcnt vmcnt(0)
	s_andn2_b32 s10, s10, exec_lo
	s_waitcnt lgkmcnt(0)
	v_cmp_eq_u64_e32 vcc_lo, -1, v[4:5]
	s_orn2_b32 s13, vcc_lo, exec_lo
.LBB4_1227:                             ;   in Loop: Header=BB4_1228 Depth=1
	s_or_b32 exec_lo, exec_lo, s14
	s_and_b32 s12, exec_lo, s13
	s_or_b32 s7, s12, s7
	s_andn2_b32 s4, s4, exec_lo
	s_and_b32 s12, s10, exec_lo
	s_or_b32 s4, s4, s12
	s_andn2_b32 exec_lo, exec_lo, s7
	s_cbranch_execz .LBB4_1231
.LBB4_1228:                             ; =>This Inner Loop Header: Depth=1
	s_cmpk_lt_i32 s11, 0x270f
	s_cselect_b32 s12, -1, 0
	s_and_b32 vcc_lo, exec_lo, s12
	s_cbranch_vccnz .LBB4_1230
; %bb.1229:                             ;   in Loop: Header=BB4_1228 Depth=1
	s_trap 2
	ds_read_b64 v[4:5], v0
	s_andn2_b32 s12, s12, exec_lo
	s_mov_b32 s11, 0
	s_waitcnt lgkmcnt(0)
	s_waitcnt_vscnt null, 0x0
	flat_load_dword v0, v[4:5] glc dlc
	s_waitcnt vmcnt(0) lgkmcnt(0)
	buffer_gl1_inv
	buffer_gl0_inv
	v_cmp_eq_u32_e32 vcc_lo, 0, v0
	s_and_b32 s13, vcc_lo, exec_lo
	s_or_b32 s12, s12, s13
	s_mov_b32 s13, -1
	s_or_b32 s10, s10, exec_lo
	s_and_saveexec_b32 s14, s12
	s_cbranch_execz .LBB4_1227
	s_branch .LBB4_1226
	.p2align	6
.LBB4_1230:                             ;   in Loop: Header=BB4_1228 Depth=1
	s_add_i32 s11, s11, 1
                                        ; implicit-def: $vgpr0
	s_mov_b32 s13, -1
	s_or_b32 s10, s10, exec_lo
	s_and_saveexec_b32 s14, s12
	s_cbranch_execz .LBB4_1227
	s_branch .LBB4_1226
.LBB4_1231:
	s_inst_prefetch 0x2
	s_or_b32 exec_lo, exec_lo, s7
	s_and_saveexec_b32 s7, s4
	s_xor_b32 s7, exec_lo, s7
	s_cbranch_execz .LBB4_1233
; %bb.1232:
	s_waitcnt_vscnt null, 0x0
	ds_write_b32 v0, v0
	s_trap 2
.LBB4_1233:
	s_or_b32 exec_lo, exec_lo, s6
	v_and_b32_e32 v0, 0x2000, v69
	s_mov_b32 s4, exec_lo
	v_cmpx_ne_u32_e32 0, v0
	s_cbranch_execz .LBB4_1235
; %bb.1234:
	s_trap 2
	ds_read_b64 v[2:3], v0
	s_waitcnt lgkmcnt(0)
	flat_store_dwordx2 v[16:17], v[2:3] offset:16
.LBB4_1235:
	s_or_b32 exec_lo, exec_lo, s4
	v_cmp_ne_u32_e32 vcc_lo, 32, v1
	s_and_b32 exec_lo, exec_lo, vcc_lo
	s_cbranch_execz .LBB4_1253
; %bb.1236:
	s_waitcnt vmcnt(0)
	v_cmp_ne_u32_sdwa s4, v1, v68 src0_sel:DWORD src1_sel:WORD_0
	s_and_saveexec_b32 s6, s4
	s_xor_b32 s4, exec_lo, s6
	s_cbranch_execz .LBB4_1251
; %bb.1237:
	v_and_b32_e32 v0, 31, v31
	s_mov_b32 s6, exec_lo
	v_cmpx_eq_u32_e32 0, v0
	s_cbranch_execz .LBB4_1250
; %bb.1238:
	s_mov_b32 s10, exec_lo
	s_mov_b32 s7, exec_lo
	v_mbcnt_lo_u32_b32 v0, s10, 0
	s_waitcnt lgkmcnt(0)
	s_waitcnt_vscnt null, 0x0
	buffer_gl1_inv
	buffer_gl0_inv
	v_cmpx_eq_u32_e32 0, v0
	s_cbranch_execz .LBB4_1240
; %bb.1239:
	s_bcnt1_i32_b32 s10, s10
	v_mov_b32_e32 v3, 0
	v_mov_b32_e32 v2, s10
	ds_add_u64 v0, v[2:3]
	s_trap 2
.LBB4_1240:
	s_or_b32 exec_lo, exec_lo, s7
	s_trap 2
	ds_read_b64 v[2:3], v0
	s_waitcnt lgkmcnt(0)
	buffer_gl0_inv
	v_lshrrev_b32_e32 v0, 5, v1
	s_mov_b32 s7, exec_lo
	v_add_co_u32 v0, vcc_lo, v12, v0
	v_add_co_ci_u32_e64 v1, null, 0, v13, vcc_lo
	v_cmpx_lt_u64_e64 v[2:3], v[0:1]
	s_cbranch_execz .LBB4_1249
; %bb.1241:
	s_mov_b32 s10, 0
	s_mov_b32 s13, 0
                                        ; implicit-def: $sgpr11
                                        ; implicit-def: $sgpr12
	s_inst_prefetch 0x1
	s_branch .LBB4_1243
	.p2align	6
.LBB4_1242:                             ;   in Loop: Header=BB4_1243 Depth=1
	s_or_b32 exec_lo, exec_lo, s15
	s_and_b32 s14, exec_lo, s16
	s_or_b32 s10, s14, s10
	s_andn2_b32 s11, s11, exec_lo
	s_and_b32 s14, s12, exec_lo
	s_or_b32 s11, s11, s14
	s_andn2_b32 exec_lo, exec_lo, s10
	s_cbranch_execz .LBB4_1247
.LBB4_1243:                             ; =>This Inner Loop Header: Depth=1
	s_add_i32 s13, s13, 1
	s_cmpk_lg_i32 s13, 0x2710
	s_cselect_b32 s14, -1, 0
	s_and_b32 vcc_lo, exec_lo, s14
	s_cbranch_vccz .LBB4_1245
; %bb.1244:                             ;   in Loop: Header=BB4_1243 Depth=1
	s_mov_b32 s16, -1
	s_or_b32 s12, s12, exec_lo
	s_and_saveexec_b32 s15, s14
	s_cbranch_execz .LBB4_1242
	s_branch .LBB4_1246
.LBB4_1245:                             ;   in Loop: Header=BB4_1243 Depth=1
	s_trap 2
	ds_read_b64 v[2:3], v0
	s_andn2_b32 s14, s14, exec_lo
	s_mov_b32 s13, 0
	s_waitcnt lgkmcnt(0)
	flat_load_dword v2, v[2:3] glc dlc
	s_waitcnt vmcnt(0) lgkmcnt(0)
	buffer_gl1_inv
	buffer_gl0_inv
	v_cmp_eq_u32_e32 vcc_lo, 0, v2
	s_and_b32 s15, vcc_lo, exec_lo
	s_or_b32 s14, s14, s15
	s_mov_b32 s16, -1
	s_or_b32 s12, s12, exec_lo
	s_and_saveexec_b32 s15, s14
	s_cbranch_execz .LBB4_1242
.LBB4_1246:                             ;   in Loop: Header=BB4_1243 Depth=1
	s_sleep 1
	s_trap 2
	ds_read_b64 v[2:3], v0
	s_waitcnt lgkmcnt(0)
	buffer_gl0_inv
	s_andn2_b32 s12, s12, exec_lo
	v_cmp_ge_u64_e32 vcc_lo, v[2:3], v[0:1]
	s_orn2_b32 s16, vcc_lo, exec_lo
	s_branch .LBB4_1242
.LBB4_1247:
	s_inst_prefetch 0x2
	s_or_b32 exec_lo, exec_lo, s10
	s_and_saveexec_b32 s10, s11
	s_xor_b32 s10, exec_lo, s10
	s_cbranch_execz .LBB4_1249
; %bb.1248:
	v_mov_b32_e32 v0, 1
	ds_write_b32 v0, v0
	s_trap 2
.LBB4_1249:
	s_or_b32 exec_lo, exec_lo, s7
	;;#ASMSTART
	s_wakeup
	;;#ASMEND
.LBB4_1250:
	s_or_b32 exec_lo, exec_lo, s6
.LBB4_1251:
	s_andn2_saveexec_b32 s4, s4
	s_cbranch_execz .LBB4_1253
; %bb.1252:
	s_waitcnt lgkmcnt(0)
	s_waitcnt_vscnt null, 0x0
	buffer_gl1_inv
	buffer_gl0_inv
	s_barrier
.LBB4_1253:
	s_or_b32 exec_lo, exec_lo, s5
.LBB4_1254:
	s_andn2_saveexec_b32 s25, s24
	s_cbranch_execz .LBB4_1256
; %bb.1255:
	s_getpc_b64 s[4:5]
	s_add_u32 s4, s4, __PRETTY_FUNCTION__._ZN10PrimitivesIh8FuncProdIhE12FanSymmetricILi1EELi0E11ProtoSimpleILi2ELi2ELi0ELi2ELi0ELi0EELi0ELb0ELi0ELi0ELi0EEC2EiiPKiS8_PKvPvmhhhP15ncclDevWorkCollP14ncclDevWorkP2pii@rel32@lo+4
	s_addc_u32 s5, s5, __PRETTY_FUNCTION__._ZN10PrimitivesIh8FuncProdIhE12FanSymmetricILi1EELi0E11ProtoSimpleILi2ELi2ELi0ELi2ELi0ELi0EELi0ELb0ELi0ELi0ELi0EEC2EiiPKiS8_PKvPvmhhhP15ncclDevWorkCollP14ncclDevWorkP2pii@rel32@hi+12
	v_mov_b32_e32 v0, s4
	v_mov_b32_e32 v1, s5
	s_getpc_b64 s[6:7]
	s_add_u32 s6, s6, __assert_fail@rel32@lo+4
	s_addc_u32 s7, s7, __assert_fail@rel32@hi+12
	s_swappc_b64 s[30:31], s[6:7]
	; divergent unreachable
.LBB4_1256:
	s_or_b32 exec_lo, exec_lo, s25
	s_clause 0x26
	buffer_load_dword v110, off, s[0:3], s33
	buffer_load_dword v109, off, s[0:3], s33 offset:4
	buffer_load_dword v108, off, s[0:3], s33 offset:8
	;; [unrolled: 1-line block ×38, first 2 shown]
	v_readlane_b32 s30, v111, 0
	v_readlane_b32 s31, v111, 1
	s_mov_b32 s32, s33
	s_or_saveexec_b32 s4, -1
	buffer_load_dword v111, off, s[0:3], s33 offset:156 ; 4-byte Folded Reload
	s_mov_b32 exec_lo, s4
	s_mov_b32 s33, s88
	s_waitcnt vmcnt(0) lgkmcnt(0)
	s_setpc_b64 s[30:31]
.Lfunc_end4:
	.size	_ZN12_GLOBAL__N_17runRingIh8FuncProdIhE11ProtoSimpleILi2ELi2ELi0ELi2ELi0ELi0EELi0ELi0ELi2ELi0EEEviiP15ncclDevWorkColl, .Lfunc_end4-_ZN12_GLOBAL__N_17runRingIh8FuncProdIhE11ProtoSimpleILi2ELi2ELi0ELi2ELi0ELi0EELi0ELi0ELi2ELi0EEEviiP15ncclDevWorkColl
                                        ; -- End function
	.set .L_ZN12_GLOBAL__N_17runRingIh8FuncProdIhE11ProtoSimpleILi2ELi2ELi0ELi2ELi0ELi0EELi0ELi0ELi2ELi0EEEviiP15ncclDevWorkColl.num_vgpr, max(120, .L__assert_fail.num_vgpr)
	.set .L_ZN12_GLOBAL__N_17runRingIh8FuncProdIhE11ProtoSimpleILi2ELi2ELi0ELi2ELi0ELi0EELi0ELi0ELi2ELi0EEEviiP15ncclDevWorkColl.num_agpr, max(0, .L__assert_fail.num_agpr)
	.set .L_ZN12_GLOBAL__N_17runRingIh8FuncProdIhE11ProtoSimpleILi2ELi2ELi0ELi2ELi0ELi0EELi0ELi0ELi2ELi0EEEviiP15ncclDevWorkColl.numbered_sgpr, max(89, .L__assert_fail.numbered_sgpr)
	.set .L_ZN12_GLOBAL__N_17runRingIh8FuncProdIhE11ProtoSimpleILi2ELi2ELi0ELi2ELi0ELi0EELi0ELi0ELi2ELi0EEEviiP15ncclDevWorkColl.num_named_barrier, max(0, .L__assert_fail.num_named_barrier)
	.set .L_ZN12_GLOBAL__N_17runRingIh8FuncProdIhE11ProtoSimpleILi2ELi2ELi0ELi2ELi0ELi0EELi0ELi0ELi2ELi0EEEviiP15ncclDevWorkColl.private_seg_size, 176+max(.L__assert_fail.private_seg_size)
	.set .L_ZN12_GLOBAL__N_17runRingIh8FuncProdIhE11ProtoSimpleILi2ELi2ELi0ELi2ELi0ELi0EELi0ELi0ELi2ELi0EEEviiP15ncclDevWorkColl.uses_vcc, or(1, .L__assert_fail.uses_vcc)
	.set .L_ZN12_GLOBAL__N_17runRingIh8FuncProdIhE11ProtoSimpleILi2ELi2ELi0ELi2ELi0ELi0EELi0ELi0ELi2ELi0EEEviiP15ncclDevWorkColl.uses_flat_scratch, or(1, .L__assert_fail.uses_flat_scratch)
	.set .L_ZN12_GLOBAL__N_17runRingIh8FuncProdIhE11ProtoSimpleILi2ELi2ELi0ELi2ELi0ELi0EELi0ELi0ELi2ELi0EEEviiP15ncclDevWorkColl.has_dyn_sized_stack, or(0, .L__assert_fail.has_dyn_sized_stack)
	.set .L_ZN12_GLOBAL__N_17runRingIh8FuncProdIhE11ProtoSimpleILi2ELi2ELi0ELi2ELi0ELi0EELi0ELi0ELi2ELi0EEEviiP15ncclDevWorkColl.has_recursion, or(1, .L__assert_fail.has_recursion)
	.set .L_ZN12_GLOBAL__N_17runRingIh8FuncProdIhE11ProtoSimpleILi2ELi2ELi0ELi2ELi0ELi0EELi0ELi0ELi2ELi0EEEviiP15ncclDevWorkColl.has_indirect_call, or(0, .L__assert_fail.has_indirect_call)
	.section	.AMDGPU.csdata,"",@progbits
; Function info:
; codeLenInByte = 49752
; TotalNumSgprs: 91
; NumVgprs: 120
; ScratchSize: 240
; MemoryBound: 1
	.text
	.p2align	2                               ; -- Begin function _Z47ncclDevFunc_AllReduce_RING_SIMPLE_Prod_u8_0_0_2v
	.type	_Z47ncclDevFunc_AllReduce_RING_SIMPLE_Prod_u8_0_0_2v,@function
_Z47ncclDevFunc_AllReduce_RING_SIMPLE_Prod_u8_0_0_2v: ; @_Z47ncclDevFunc_AllReduce_RING_SIMPLE_Prod_u8_0_0_2v
; %bb.0:
	s_waitcnt vmcnt(0) expcnt(0) lgkmcnt(0)
	s_mov_b32 s94, s33
	s_mov_b32 s33, s32
	s_or_saveexec_b32 s4, -1
	buffer_store_dword v43, off, s[0:3], s33 offset:16 ; 4-byte Folded Spill
	s_mov_b32 exec_lo, s4
	s_addk_i32 s32, 0x400
	buffer_store_dword v40, off, s[0:3], s33 offset:12 ; 4-byte Folded Spill
	buffer_store_dword v41, off, s[0:3], s33 offset:8 ; 4-byte Folded Spill
	;; [unrolled: 1-line block ×3, first 2 shown]
	buffer_store_dword v111, off, s[0:3], s33 ; 4-byte Folded Spill
	v_writelane_b32 v43, s30, 0
	v_writelane_b32 v43, s31, 1
	s_trap 2
	ds_read_b32 v0, v0
	v_mov_b32_e32 v40, v31
	s_waitcnt lgkmcnt(0)
	v_cmp_gt_i32_e32 vcc_lo, 1, v0
	s_cbranch_vccnz .LBB5_8
; %bb.1:
	v_and_b32_e32 v41, 0x3ff, v40
	v_mov_b32_e32 v42, 5
	s_mov_b32 s89, s12
	s_mov_b64 s[90:91], s[8:9]
	s_mov_b32 s92, 0
	s_inst_prefetch 0x1
	s_branch .LBB5_3
	.p2align	6
.LBB5_2:                                ;   in Loop: Header=BB5_3 Depth=1
	s_or_b32 exec_lo, exec_lo, s93
	s_trap 2
	ds_read_b32 v0, v0
	s_add_i32 s92, s92, 1
	s_waitcnt lgkmcnt(0)
	v_cmp_lt_i32_e32 vcc_lo, s92, v0
	s_cbranch_vccz .LBB5_8
.LBB5_3:                                ; =>This Inner Loop Header: Depth=1
	s_trap 2
	ds_read_b32 v0, v0
	s_cmp_eq_u32 s92, 0
	s_cbranch_scc1 .LBB5_6
; %bb.4:                                ;   in Loop: Header=BB5_3 Depth=1
	s_trap 2
	s_waitcnt lgkmcnt(0)
	ds_read_b32 v1, v0
	s_waitcnt lgkmcnt(0)
	v_xor_b32_e32 v1, v1, v0
	v_and_b32_e32 v1, 0xff0000, v1
	v_cmp_eq_u32_e32 vcc_lo, 0, v1
	s_cbranch_vccnz .LBB5_6
; %bb.5:                                ;   in Loop: Header=BB5_3 Depth=1
	s_waitcnt_vscnt null, 0x0
	s_barrier
	buffer_gl0_inv
	ds_read_b32 v0, v0
.LBB5_6:                                ;   in Loop: Header=BB5_3 Depth=1
	s_waitcnt lgkmcnt(0)
	v_lshlrev_b32_sdwa v1, v42, v0 dst_sel:DWORD dst_unused:UNUSED_PAD src0_sel:DWORD src1_sel:BYTE_2
	s_mov_b32 s93, exec_lo
	v_cmpx_lt_u32_e64 v41, v1
	s_cbranch_execz .LBB5_2
; %bb.7:                                ;   in Loop: Header=BB5_3 Depth=1
	s_mov_b64 s[4:5], src_shared_base
	v_mov_b32_e32 v31, v40
	v_mov_b32_e32 v0, v41
	;; [unrolled: 1-line block ×3, first 2 shown]
	s_getpc_b64 s[6:7]
	s_add_u32 s6, s6, _ZN12_GLOBAL__N_17runRingIh8FuncProdIhE11ProtoSimpleILi2ELi2ELi0ELi2ELi0ELi0EELi0ELi0ELi2ELi0EEEviiP15ncclDevWorkColl@rel32@lo+4
	s_addc_u32 s7, s7, _ZN12_GLOBAL__N_17runRingIh8FuncProdIhE11ProtoSimpleILi2ELi2ELi0ELi2ELi0ELi0EELi0ELi0ELi2ELi0EEEviiP15ncclDevWorkColl@rel32@hi+12
	s_mov_b64 s[8:9], s[90:91]
	s_mov_b32 s12, s89
	s_swappc_b64 s[30:31], s[6:7]
	s_branch .LBB5_2
.LBB5_8:
	s_inst_prefetch 0x2
	s_clause 0x3
	buffer_load_dword v111, off, s[0:3], s33
	buffer_load_dword v42, off, s[0:3], s33 offset:4
	buffer_load_dword v41, off, s[0:3], s33 offset:8
	;; [unrolled: 1-line block ×3, first 2 shown]
	v_readlane_b32 s30, v43, 0
	v_readlane_b32 s31, v43, 1
	s_mov_b32 s32, s33
	s_or_saveexec_b32 s4, -1
	buffer_load_dword v43, off, s[0:3], s33 offset:16 ; 4-byte Folded Reload
	s_mov_b32 exec_lo, s4
	s_mov_b32 s33, s94
	s_waitcnt vmcnt(0)
	s_setpc_b64 s[30:31]
.Lfunc_end5:
	.size	_Z47ncclDevFunc_AllReduce_RING_SIMPLE_Prod_u8_0_0_2v, .Lfunc_end5-_Z47ncclDevFunc_AllReduce_RING_SIMPLE_Prod_u8_0_0_2v
                                        ; -- End function
	.set .L_Z47ncclDevFunc_AllReduce_RING_SIMPLE_Prod_u8_0_0_2v.num_vgpr, max(112, .L_ZN12_GLOBAL__N_17runRingIh8FuncProdIhE11ProtoSimpleILi2ELi2ELi0ELi2ELi0ELi0EELi0ELi0ELi2ELi0EEEviiP15ncclDevWorkColl.num_vgpr)
	.set .L_Z47ncclDevFunc_AllReduce_RING_SIMPLE_Prod_u8_0_0_2v.num_agpr, max(0, .L_ZN12_GLOBAL__N_17runRingIh8FuncProdIhE11ProtoSimpleILi2ELi2ELi0ELi2ELi0ELi0EELi0ELi0ELi2ELi0EEEviiP15ncclDevWorkColl.num_agpr)
	.set .L_Z47ncclDevFunc_AllReduce_RING_SIMPLE_Prod_u8_0_0_2v.numbered_sgpr, max(95, .L_ZN12_GLOBAL__N_17runRingIh8FuncProdIhE11ProtoSimpleILi2ELi2ELi0ELi2ELi0ELi0EELi0ELi0ELi2ELi0EEEviiP15ncclDevWorkColl.numbered_sgpr)
	.set .L_Z47ncclDevFunc_AllReduce_RING_SIMPLE_Prod_u8_0_0_2v.num_named_barrier, max(0, .L_ZN12_GLOBAL__N_17runRingIh8FuncProdIhE11ProtoSimpleILi2ELi2ELi0ELi2ELi0ELi0EELi0ELi0ELi2ELi0EEEviiP15ncclDevWorkColl.num_named_barrier)
	.set .L_Z47ncclDevFunc_AllReduce_RING_SIMPLE_Prod_u8_0_0_2v.private_seg_size, 32+max(.L_ZN12_GLOBAL__N_17runRingIh8FuncProdIhE11ProtoSimpleILi2ELi2ELi0ELi2ELi0ELi0EELi0ELi0ELi2ELi0EEEviiP15ncclDevWorkColl.private_seg_size)
	.set .L_Z47ncclDevFunc_AllReduce_RING_SIMPLE_Prod_u8_0_0_2v.uses_vcc, or(1, .L_ZN12_GLOBAL__N_17runRingIh8FuncProdIhE11ProtoSimpleILi2ELi2ELi0ELi2ELi0ELi0EELi0ELi0ELi2ELi0EEEviiP15ncclDevWorkColl.uses_vcc)
	.set .L_Z47ncclDevFunc_AllReduce_RING_SIMPLE_Prod_u8_0_0_2v.uses_flat_scratch, or(0, .L_ZN12_GLOBAL__N_17runRingIh8FuncProdIhE11ProtoSimpleILi2ELi2ELi0ELi2ELi0ELi0EELi0ELi0ELi2ELi0EEEviiP15ncclDevWorkColl.uses_flat_scratch)
	.set .L_Z47ncclDevFunc_AllReduce_RING_SIMPLE_Prod_u8_0_0_2v.has_dyn_sized_stack, or(0, .L_ZN12_GLOBAL__N_17runRingIh8FuncProdIhE11ProtoSimpleILi2ELi2ELi0ELi2ELi0ELi0EELi0ELi0ELi2ELi0EEEviiP15ncclDevWorkColl.has_dyn_sized_stack)
	.set .L_Z47ncclDevFunc_AllReduce_RING_SIMPLE_Prod_u8_0_0_2v.has_recursion, or(1, .L_ZN12_GLOBAL__N_17runRingIh8FuncProdIhE11ProtoSimpleILi2ELi2ELi0ELi2ELi0ELi0EELi0ELi0ELi2ELi0EEEviiP15ncclDevWorkColl.has_recursion)
	.set .L_Z47ncclDevFunc_AllReduce_RING_SIMPLE_Prod_u8_0_0_2v.has_indirect_call, or(0, .L_ZN12_GLOBAL__N_17runRingIh8FuncProdIhE11ProtoSimpleILi2ELi2ELi0ELi2ELi0ELi0EELi0ELi0ELi2ELi0EEEviiP15ncclDevWorkColl.has_indirect_call)
	.section	.AMDGPU.csdata,"",@progbits
; Function info:
; codeLenInByte = 476
; TotalNumSgprs: 97
; NumVgprs: 120
; ScratchSize: 272
; MemoryBound: 0
	.text
	.p2align	2                               ; -- Begin function _ZN12_GLOBAL__N_17runRingIh8FuncProdIhE11ProtoSimpleILi2ELi2ELi0ELi4ELi0ELi0EELi0ELi0ELi4ELi0EEEviiP15ncclDevWorkColl
	.type	_ZN12_GLOBAL__N_17runRingIh8FuncProdIhE11ProtoSimpleILi2ELi2ELi0ELi4ELi0ELi0EELi0ELi0ELi4ELi0EEEviiP15ncclDevWorkColl,@function
_ZN12_GLOBAL__N_17runRingIh8FuncProdIhE11ProtoSimpleILi2ELi2ELi0ELi4ELi0ELi0EELi0ELi0ELi4ELi0EEEviiP15ncclDevWorkColl: ; @_ZN12_GLOBAL__N_17runRingIh8FuncProdIhE11ProtoSimpleILi2ELi2ELi0ELi4ELi0ELi0EELi0ELi0ELi4ELi0EEEviiP15ncclDevWorkColl
; %bb.0:
	s_waitcnt vmcnt(0) expcnt(0) lgkmcnt(0)
	s_mov_b32 s88, s33
	s_mov_b32 s33, s32
	s_or_saveexec_b32 s4, -1
	buffer_store_dword v127, off, s[0:3], s33 offset:296 ; 4-byte Folded Spill
	s_mov_b32 exec_lo, s4
	s_addk_i32 s32, 0x2600
	buffer_store_dword v40, off, s[0:3], s33 offset:184 ; 4-byte Folded Spill
	buffer_store_dword v41, off, s[0:3], s33 offset:180 ; 4-byte Folded Spill
	;; [unrolled: 1-line block ×46, first 2 shown]
	buffer_store_dword v126, off, s[0:3], s33 ; 4-byte Folded Spill
	v_writelane_b32 v127, s30, 0
	v_writelane_b32 v127, s31, 1
	s_trap 2
	flat_load_dword v9, v[2:3]
	ds_read_b32 v6, v0
                                        ; implicit-def: $vgpr14_vgpr15
                                        ; implicit-def: $vgpr4_vgpr5
                                        ; kill: killed $vgpr4_vgpr5
                                        ; implicit-def: $vgpr22_vgpr23
	s_waitcnt lgkmcnt(0)
	v_readfirstlane_b32 s25, v6
	s_waitcnt vmcnt(0)
	v_cmp_ne_u32_sdwa s4, v6, v9 src0_sel:DWORD src1_sel:BYTE_0
	s_and_saveexec_b32 s5, s4
	s_xor_b32 s4, exec_lo, s5
	s_cbranch_execz .LBB6_6
; %bb.1:
	v_not_b32_sdwa v8, v9 dst_sel:DWORD dst_unused:UNUSED_PAD src0_sel:BYTE_0
	v_cmp_ne_u32_sdwa s5, v6, v9 src0_sel:DWORD src1_sel:BYTE_1
                                        ; implicit-def: $vgpr14_vgpr15
                                        ; implicit-def: $vgpr4_vgpr5
                                        ; kill: killed $vgpr4_vgpr5
                                        ; implicit-def: $vgpr22_vgpr23
	s_and_saveexec_b32 s6, s5
	s_xor_b32 s5, exec_lo, s6
	s_cbranch_execz .LBB6_3
; %bb.2:
	s_clause 0x1
	flat_load_dwordx4 v[9:12], v[2:3] offset:72
	flat_load_dwordx2 v[4:5], v[2:3] offset:96
	v_add_nc_u32_e32 v6, v6, v8
	v_ashrrev_i32_e32 v7, 31, v6
	s_waitcnt vmcnt(1) lgkmcnt(1)
	v_mul_lo_u32 v7, v11, v7
	v_mad_u64_u32 v[8:9], null, v11, v6, v[9:10]
	v_mul_lo_u32 v6, v12, v6
	v_mov_b32_e32 v23, v12
	s_waitcnt vmcnt(0) lgkmcnt(0)
	v_lshrrev_b64 v[14:15], 12, v[4:5]
	v_mov_b32_e32 v22, v11
	v_add3_u32 v9, v6, v9, v7
	buffer_store_dword v8, off, s[0:3], s33 offset:244 ; 4-byte Folded Spill
	buffer_store_dword v9, off, s[0:3], s33 offset:248 ; 4-byte Folded Spill
                                        ; implicit-def: $vgpr9
                                        ; implicit-def: $vgpr8
.LBB6_3:
	s_andn2_saveexec_b32 s5, s5
	s_cbranch_execz .LBB6_5
; %bb.4:
	s_clause 0x1
	flat_load_dwordx4 v[10:13], v[2:3] offset:72
	flat_load_dwordx4 v[22:25], v[2:3] offset:88
	v_add_nc_u32_sdwa v6, v9, v8 dst_sel:DWORD dst_unused:UNUSED_PAD src0_sel:BYTE_1 src1_sel:DWORD
	v_ashrrev_i32_e32 v8, 31, v6
	s_waitcnt vmcnt(1) lgkmcnt(1)
	v_mul_lo_u32 v8, v12, v8
	v_mad_u64_u32 v[4:5], null, v12, v6, v[10:11]
	v_mul_lo_u32 v6, v13, v6
	s_waitcnt vmcnt(0) lgkmcnt(0)
	v_lshrrev_b32_e32 v14, 1, v25
	v_add3_u32 v5, v6, v5, v8
	buffer_store_dword v4, off, s[0:3], s33 offset:244 ; 4-byte Folded Spill
	buffer_store_dword v5, off, s[0:3], s33 offset:248 ; 4-byte Folded Spill
.LBB6_5:
	s_or_b32 exec_lo, exec_lo, s5
.LBB6_6:
	s_andn2_saveexec_b32 s4, s4
	s_cbranch_execz .LBB6_8
; %bb.7:
	s_clause 0x1
	flat_load_dwordx2 v[6:7], v[2:3] offset:96
	flat_load_dwordx2 v[22:23], v[2:3] offset:72
	v_mov_b32_e32 v4, 0
	v_mov_b32_e32 v5, 0
	buffer_store_dword v4, off, s[0:3], s33 offset:244 ; 4-byte Folded Spill
	buffer_store_dword v5, off, s[0:3], s33 offset:248 ; 4-byte Folded Spill
	s_waitcnt vmcnt(1) lgkmcnt(1)
	v_lshlrev_b64 v[14:15], 9, v[6:7]
.LBB6_8:
	s_or_b32 exec_lo, exec_lo, s4
	s_trap 2
	ds_read_b64 v[6:7], v0
	s_mov_b32 s5, exec_lo
	s_waitcnt lgkmcnt(0)
	v_cmp_ne_u32_e32 vcc_lo, -1, v6
	v_cndmask_b32_e64 v19, 0, 1, vcc_lo
	v_cmp_ne_u32_e32 vcc_lo, -1, v7
	v_add_co_ci_u32_e64 v8, null, 0, v19, vcc_lo
	v_lshlrev_b32_e32 v6, 1, v8
	v_cmpx_le_u32_e64 v6, v1
	s_xor_b32 s24, exec_lo, s5
	s_cbranch_execz .LBB6_1255
; %bb.9:
	s_clause 0x3
	flat_load_dwordx4 v[10:13], v[2:3] offset:16
	flat_load_dwordx2 v[15:16], v[2:3] offset:104
	flat_load_ushort v7, v[2:3] offset:8
	flat_load_dword v6, v[2:3] offset:4
	s_trap 2
	s_load_dword s4, s[8:9], 0x0
	v_mov_b32_e32 v9, 0
	v_mov_b32_e32 v116, 4
	s_waitcnt lgkmcnt(0)
	s_cmp_lt_u32 s12, s4
	s_cselect_b32 s4, 12, 18
	s_add_u32 s4, s8, s4
	s_addc_u32 s5, s9, 0
	global_load_ushort v21, v9, s[4:5]
	ds_read_b32 v9, v0
	s_mov_b32 s5, exec_lo
	s_waitcnt lgkmcnt(0)
	v_readfirstlane_b32 s12, v9
	v_cmpx_ge_i32_e64 v0, v19
	s_cbranch_execz .LBB6_19
; %bb.10:
	v_cmp_ge_u32_e64 s4, v0, v8
                                        ; implicit-def: $vgpr116
	s_and_saveexec_b32 s6, s4
	s_xor_b32 s4, exec_lo, s6
	s_cbranch_execz .LBB6_16
; %bb.11:
	v_cndmask_b32_e64 v9, 0, 1, vcc_lo
	s_mov_b32 s6, exec_lo
	v_sub_nc_u32_e32 v9, v1, v9
	v_cmpx_ge_u32_e64 v0, v9
	s_xor_b32 s6, exec_lo, s6
; %bb.12:
                                        ; implicit-def: $vgpr8
; %bb.13:
	s_or_saveexec_b32 s6, s6
	v_mov_b32_e32 v116, 16
	s_xor_b32 exec_lo, exec_lo, s6
; %bb.14:
	v_sub_nc_u32_e32 v8, v1, v8
	v_cmp_lt_i32_e32 vcc_lo, v0, v8
	v_cndmask_b32_e64 v116, 32, 0, vcc_lo
; %bb.15:
	s_or_b32 exec_lo, exec_lo, s6
.LBB6_16:
	s_andn2_saveexec_b32 s4, s4
; %bb.17:
	v_mov_b32_e32 v116, 8
; %bb.18:
	s_or_b32 exec_lo, exec_lo, s4
.LBB6_19:
	s_or_b32 exec_lo, exec_lo, s5
	v_and_b32_e32 v8, 36, v116
	v_cmp_ne_u32_e32 vcc_lo, 0, v8
	v_mov_b32_e32 v8, -1
	s_and_saveexec_b32 s4, vcc_lo
	s_cbranch_execz .LBB6_21
; %bb.20:
	s_trap 2
	ds_read_b32 v8, v0
.LBB6_21:
	s_or_b32 exec_lo, exec_lo, s4
	v_and_b32_e32 v9, 24, v116
	s_mov_b32 s5, exec_lo
	v_cmpx_ne_u32_e32 0, v9
	s_cbranch_execz .LBB6_23
; %bb.22:
	s_trap 2
	s_waitcnt lgkmcnt(0)
	ds_read_b32 v8, v0
.LBB6_23:
	s_or_b32 exec_lo, exec_lo, s5
	s_waitcnt vmcnt(1)
	v_lshrrev_b64 v[17:18], 31, v[6:7]
	v_mov_b32_e32 v24, 0
	v_mov_b32_e32 v6, 0
	v_mov_b32_e32 v25, 0
	v_mov_b32_e32 v7, 0
                                        ; implicit-def: $vgpr4_vgpr5
                                        ; kill: killed $vgpr4_vgpr5
                                        ; implicit-def: $vgpr117
                                        ; implicit-def: $vgpr80_vgpr81
                                        ; implicit-def: $vgpr50_vgpr51
                                        ; implicit-def: $vgpr64_vgpr65
                                        ; implicit-def: $vgpr48_vgpr49
	v_and_b32_e32 v20, 3, v17
	s_and_saveexec_b32 s4, vcc_lo
	s_cbranch_execz .LBB6_33
; %bb.24:
	s_trap 2
	ds_read_b64 v[6:7], v0
	s_waitcnt lgkmcnt(1)
	v_ashrrev_i32_e32 v9, 31, v8
	s_mov_b32 s5, exec_lo
                                        ; implicit-def: $vgpr4_vgpr5
                                        ; kill: killed $vgpr4_vgpr5
	v_lshlrev_b64 v[17:18], 3, v[8:9]
	v_and_b32_e32 v9, 0xffff, v20
	s_waitcnt lgkmcnt(0)
	v_add_co_u32 v6, vcc_lo, v6, v17
	v_add_co_ci_u32_e64 v7, null, v7, v18, vcc_lo
	flat_load_dwordx2 v[6:7], v[6:7]
	s_waitcnt vmcnt(0) lgkmcnt(0)
	v_mad_u64_u32 v[17:18], null, 0xa8, v9, v[6:7]
	flat_load_dword v6, v[17:18] offset:640
	s_waitcnt vmcnt(0) lgkmcnt(0)
	v_cmpx_eq_u32_e32 1, v6
	s_cbranch_execz .LBB6_26
; %bb.25:
	flat_load_dwordx2 v[4:5], v[17:18] offset:648
	v_or_b32_e32 v116, 0x2000, v116
	s_waitcnt vmcnt(0) lgkmcnt(0)
	flat_load_dwordx2 v[6:7], v[4:5]
	s_trap 2
	s_waitcnt vmcnt(0) lgkmcnt(0)
	ds_write_b64 v0, v[6:7]
	flat_load_dwordx2 v[6:7], v[4:5] offset:8
	s_waitcnt vmcnt(0) lgkmcnt(0)
	ds_write_b64 v0, v[6:7]
	buffer_store_dword v4, off, s[0:3], s33 offset:288 ; 4-byte Folded Spill
	buffer_store_dword v5, off, s[0:3], s33 offset:292 ; 4-byte Folded Spill
	flat_load_dwordx2 v[6:7], v[4:5] offset:16
	s_waitcnt vmcnt(0) lgkmcnt(0)
	ds_write_b64 v0, v[6:7]
.LBB6_26:
	s_or_b32 exec_lo, exec_lo, s5
	flat_load_dwordx2 v[6:7], v[17:18] offset:608
	v_and_b32_e32 v9, 32, v116
	s_mov_b32 s5, exec_lo
                                        ; implicit-def: $vgpr48_vgpr49
	s_waitcnt vmcnt(0) lgkmcnt(0)
	v_add_co_u32 v6, vcc_lo, v6, 3
	v_add_co_ci_u32_e64 v81, null, 0, v7, vcc_lo
	v_and_b32_e32 v80, -4, v6
	v_cmpx_ne_u32_e32 0, v9
	s_cbranch_execz .LBB6_28
; %bb.27:
	flat_load_dwordx2 v[48:49], v[17:18] offset:560
	s_waitcnt vmcnt(0) lgkmcnt(0)
	s_waitcnt_vscnt null, 0x0
	flat_store_dwordx2 v[48:49], v[80:81]
.LBB6_28:
	s_or_b32 exec_lo, exec_lo, s5
	v_add_co_u32 v24, vcc_lo, 0x1f8, v17
	v_mov_b32_e32 v6, 0
	v_and_b32_e32 v9, 4, v116
	v_add_co_ci_u32_e64 v25, null, 0, v18, vcc_lo
	v_mov_b32_e32 v7, 0
	s_mov_b32 s5, exec_lo
                                        ; implicit-def: $vgpr117
                                        ; implicit-def: $vgpr50_vgpr51
                                        ; implicit-def: $vgpr64_vgpr65
	v_cmpx_ne_u32_e32 0, v9
	s_cbranch_execz .LBB6_32
; %bb.29:
	v_and_b32_e32 v6, 0x800, v116
	s_mov_b32 s6, exec_lo
	v_cmpx_eq_u32_e32 0, v6
	s_cbranch_execz .LBB6_31
; %bb.30:
	s_trap 2
	ds_write_b64 v0, v[24:25]
.LBB6_31:
	s_or_b32 exec_lo, exec_lo, s6
	flat_load_dwordx2 v[48:49], v[17:18] offset:552
	v_or_b32_e32 v9, 0x100, v116
	s_waitcnt vmcnt(0) lgkmcnt(0)
	flat_load_dwordx2 v[64:65], v[48:49] glc dlc
	s_clause 0x2
	flat_load_dwordx2 v[6:7], v[17:18] offset:600
	flat_load_dword v117, v[17:18] offset:576
	flat_load_dwordx2 v[50:51], v[17:18] offset:520
	s_waitcnt vmcnt(2) lgkmcnt(2)
	v_cmp_eq_u64_e32 vcc_lo, 0, v[6:7]
	v_cndmask_b32_e32 v116, v9, v116, vcc_lo
.LBB6_32:
	s_or_b32 exec_lo, exec_lo, s5
.LBB6_33:
	s_or_b32 exec_lo, exec_lo, s4
	v_and_b32_e32 v9, 24, v116
	s_mov_b32 s4, exec_lo
                                        ; implicit-def: $vgpr52_vgpr53
	v_cmpx_ne_u32_e32 0, v9
	s_cbranch_execz .LBB6_41
; %bb.34:
	s_trap 2
	ds_read_b64 v[6:7], v0
	s_waitcnt lgkmcnt(1)
	v_ashrrev_i32_e32 v9, 31, v8
	v_or_b32_e32 v17, 0x100, v116
	s_mov_b32 s5, exec_lo
                                        ; implicit-def: $vgpr52_vgpr53
	v_lshlrev_b64 v[8:9], 3, v[8:9]
	s_waitcnt lgkmcnt(0)
	v_add_co_u32 v6, vcc_lo, v6, v8
	v_add_co_ci_u32_e64 v7, null, v7, v9, vcc_lo
	v_and_b32_e32 v8, 0xffff, v20
	flat_load_dwordx2 v[6:7], v[6:7]
	s_waitcnt vmcnt(0) lgkmcnt(0)
	v_mad_u64_u32 v[24:25], null, 0xa8, v8, v[6:7]
	flat_load_dwordx4 v[6:9], v[24:25] offset:96
	s_waitcnt vmcnt(0) lgkmcnt(0)
	v_cmp_eq_u64_e32 vcc_lo, 0, v[6:7]
	v_cndmask_b32_e32 v116, v17, v116, vcc_lo
	v_and_b32_e32 v17, 16, v116
	v_cmpx_ne_u32_e32 0, v17
	s_cbranch_execz .LBB6_36
; %bb.35:
	s_clause 0x2
	flat_load_dwordx2 v[48:49], v[24:25] offset:48
	flat_load_dwordx2 v[52:53], v[24:25] offset:120
	;; [unrolled: 1-line block ×3, first 2 shown]
.LBB6_36:
	s_or_b32 exec_lo, exec_lo, s5
	v_add_co_u32 v8, vcc_lo, v8, 3
	v_and_b32_e32 v17, 8, v116
	v_add_co_ci_u32_e64 v81, null, 0, v9, vcc_lo
	v_and_b32_e32 v80, -4, v8
	s_mov_b32 s5, exec_lo
	v_cmpx_ne_u32_e32 0, v17
	s_cbranch_execz .LBB6_40
; %bb.37:
	v_and_b32_e32 v8, 0x800, v116
	s_mov_b32 s6, exec_lo
	v_cmpx_eq_u32_e32 0, v8
	s_cbranch_execz .LBB6_39
; %bb.38:
	s_trap 2
	ds_write_b64 v0, v[24:25]
.LBB6_39:
	s_or_b32 exec_lo, exec_lo, s6
	s_waitcnt vmcnt(2) lgkmcnt(2)
	flat_load_dwordx2 v[48:49], v[24:25] offset:56
	s_waitcnt vmcnt(0) lgkmcnt(0)
	flat_load_dwordx2 v[64:65], v[48:49] glc dlc
	s_clause 0x1
	flat_load_dword v117, v[24:25] offset:72
	flat_load_dwordx2 v[50:51], v[24:25] offset:16
.LBB6_40:
	s_or_b32 exec_lo, exec_lo, s5
.LBB6_41:
	s_or_b32 exec_lo, exec_lo, s4
	v_cmp_eq_u32_e64 s4, 0, v0
	s_and_saveexec_b32 s5, s4
	s_cbranch_execz .LBB6_43
; %bb.42:
	s_waitcnt lgkmcnt(0)
	flat_load_dwordx2 v[8:9], v[2:3] offset:32
	ds_write2_b64 v0, v[12:13], v[10:11] offset1:1
	s_trap 2
	s_waitcnt vmcnt(0) lgkmcnt(1)
	ds_write_b64 v0, v[8:9]
	ds_write_b64 v0, v[15:16]
.LBB6_43:
	s_or_b32 exec_lo, exec_lo, s5
	v_mov_b32_e32 v54, 0
	v_mov_b32_e32 v55, 0
	s_mov_b32 s26, exec_lo
	v_cmpx_lt_i64_e32 0, v[22:23]
	s_cbranch_execz .LBB6_1221
; %bb.44:
	buffer_store_dword v24, off, s[0:3], s33 offset:280 ; 4-byte Folded Spill
	buffer_store_dword v25, off, s[0:3], s33 offset:284 ; 4-byte Folded Spill
	flat_load_dword v3, v[2:3] offset:4
	v_mov_b32_e32 v2, 0
	v_and_b32_e32 v4, 0x3ffffe00, v14
	buffer_store_dword v31, off, s[0:3], s33 offset:272 ; 4-byte Folded Spill
	s_waitcnt vmcnt(1)
	buffer_store_dword v21, off, s[0:3], s33 offset:276 ; 4-byte Folded Spill
	buffer_store_dword v1, off, s[0:3], s33 offset:268 ; 4-byte Folded Spill
	v_mov_b32_e32 v5, v2
	s_ashr_i32 s28, s25, 31
	s_waitcnt lgkmcnt(1)
	v_and_b32_e32 v8, 31, v31
	v_ashrrev_i32_e32 v9, 31, v0
	buffer_store_dword v4, off, s[0:3], s33 offset:200 ; 4-byte Folded Spill
	buffer_store_dword v5, off, s[0:3], s33 offset:204 ; 4-byte Folded Spill
	s_add_u32 s40, s25, -1
	s_addc_u32 s41, s28, -1
	s_add_i32 s42, s25, s25
	s_not_b32 s11, s25
	s_cmp_gt_i32 s25, 0
	v_lshrrev_b32_e32 v119, 5, v1
	s_cselect_b32 s13, s11, -1
	v_cmp_eq_u32_e64 s11, 0, v8
	v_lshrrev_b32_e32 v8, 27, v9
	v_and_b32_e32 v40, 0x1fe0, v1
	v_cmp_ge_i32_e32 vcc_lo, v0, v1
	v_cmp_eq_u32_e64 s5, 32, v1
	v_cmp_ne_u32_e64 s6, 32, v1
	v_add_nc_u32_e32 v8, v0, v8
	v_cmp_ne_u32_sdwa s29, v1, v21 src0_sel:DWORD src1_sel:WORD_0
	v_lshlrev_b32_e32 v46, 9, v119
	s_ashr_i32 s14, s12, 31
	v_subrev_nc_u32_e32 v57, 32, v40
	v_and_b32_e32 v9, 0xffffffe0, v8
	v_ashrrev_i32_e32 v60, 5, v8
	s_add_i32 s43, s13, s42
	s_lshr_b32 s13, s14, 25
	v_add_nc_u32_e32 v10, 0xfffffe00, v46
	v_sub_nc_u32_e32 v1, v0, v9
	v_lshlrev_b32_e32 v8, 12, v60
	s_add_i32 s12, s12, s13
	v_lshlrev_b32_e32 v9, 11, v60
	s_ashr_i32 s44, s43, 31
	s_ashr_i32 s45, s12, 7
	v_lshl_add_u32 v73, v1, 4, v8
	v_ashrrev_i32_e32 v59, 31, v57
	s_cmp_gt_i32 s25, 2
	v_ashrrev_i32_e32 v61, 31, v10
	s_cselect_b32 s46, -1, 0
	s_add_i32 s16, s25, 1
	v_add_co_u32 v63, s12, v57, 32
	v_add_co_ci_u32_e64 v72, null, 0, v59, s12
	v_add_co_u32 v74, s12, 0x200, v10
	v_mov_b32_e32 v114, 0
	v_cmp_eq_u64_e64 s7, 0, v[52:53]
	v_cmp_ne_u64_e64 s10, 0, v[52:53]
	v_mov_b32_e32 v54, 0
	v_ashrrev_i32_e32 v118, 31, v117
	v_mov_b32_e32 v115, 0
	v_mov_b32_e32 v41, 1
	;; [unrolled: 1-line block ×6, first 2 shown]
	v_lshlrev_b32_e32 v45, 12, v119
	v_lshlrev_b32_e32 v47, 10, v119
	;; [unrolled: 1-line block ×3, first 2 shown]
	v_add_co_ci_u32_e64 v75, null, 0, v61, s12
	v_cmp_gt_i32_e64 s12, 1, v1
	v_cmp_lt_i32_e64 s14, v1, v19
	buffer_store_dword v1, off, s[0:3], s33 offset:188 ; 4-byte Folded Spill
	v_cmp_le_i32_e64 s15, v1, v19
	v_ashrrev_i32_e32 v77, 31, v73
	s_mov_b32 s27, 0
	s_waitcnt vmcnt(0) lgkmcnt(0)
	v_and_b32_e32 v3, 1, v3
	v_cmp_eq_u32_e64 s13, 1, v3
	v_sub_nc_u32_e32 v3, v73, v9
	v_mad_i64_i32 v[4:5], null, v4, s25, 0
	s_xor_b32 s47, s13, -1
	s_cmp_ge_i32 s16, s25
	v_ashrrev_i32_e32 v1, 31, v3
	s_cselect_b32 s17, s25, 0
	s_add_i32 s56, s25, -2
	s_sub_i32 s58, s16, s17
	s_xor_b32 s57, vcc_lo, -1
	s_ashr_i32 s20, s28, 31
	s_ashr_i32 s59, s58, 31
	s_sub_i32 s60, 0, s25
	buffer_store_dword v3, off, s[0:3], s33 offset:208 ; 4-byte Folded Spill
	buffer_store_dword v1, off, s[0:3], s33 offset:212 ; 4-byte Folded Spill
	s_trap 2
	buffer_store_dword v61, off, s[0:3], s33 offset:216 ; 4-byte Folded Spill
	buffer_store_dword v22, off, s[0:3], s33 offset:252 ; 4-byte Folded Spill
	;; [unrolled: 1-line block ×7, first 2 shown]
	s_branch .LBB6_47
.LBB6_45:                               ;   in Loop: Header=BB6_47 Depth=1
	s_or_b32 exec_lo, exec_lo, s18
.LBB6_46:                               ;   in Loop: Header=BB6_47 Depth=1
	s_or_b32 exec_lo, exec_lo, s17
	s_clause 0x3
	buffer_load_dword v22, off, s[0:3], s33 offset:252
	buffer_load_dword v23, off, s[0:3], s33 offset:256
	;; [unrolled: 1-line block ×4, first 2 shown]
	s_waitcnt vmcnt(5)
	v_add_co_u32 v114, vcc_lo, v114, v4
	s_waitcnt vmcnt(4)
	v_add_co_ci_u32_e64 v115, null, v115, v5, vcc_lo
	s_waitcnt vmcnt(2)
	v_cmp_ge_i64_e32 vcc_lo, v[114:115], v[22:23]
	s_or_b32 s27, vcc_lo, s27
	s_andn2_b32 exec_lo, exec_lo, s27
	s_cbranch_execz .LBB6_1220
.LBB6_47:                               ; =>This Loop Header: Depth=1
                                        ;     Child Loop BB6_57 Depth 2
                                        ;       Child Loop BB6_65 Depth 3
                                        ;       Child Loop BB6_89 Depth 3
	;; [unrolled: 1-line block ×9, first 2 shown]
                                        ;     Child Loop BB6_199 Depth 2
                                        ;       Child Loop BB6_205 Depth 3
                                        ;       Child Loop BB6_229 Depth 3
	;; [unrolled: 1-line block ×3, first 2 shown]
                                        ;     Child Loop BB6_271 Depth 2
                                        ;       Child Loop BB6_274 Depth 3
                                        ;         Child Loop BB6_282 Depth 4
                                        ;         Child Loop BB6_310 Depth 4
	;; [unrolled: 1-line block ×9, first 2 shown]
                                        ;       Child Loop BB6_420 Depth 3
                                        ;         Child Loop BB6_426 Depth 4
                                        ;         Child Loop BB6_454 Depth 4
	;; [unrolled: 1-line block ×3, first 2 shown]
                                        ;     Child Loop BB6_496 Depth 2
                                        ;       Child Loop BB6_504 Depth 3
                                        ;       Child Loop BB6_532 Depth 3
	;; [unrolled: 1-line block ×5, first 2 shown]
                                        ;         Child Loop BB6_584 Depth 4
                                        ;       Child Loop BB6_593 Depth 3
                                        ;       Child Loop BB6_598 Depth 3
                                        ;         Child Loop BB6_599 Depth 4
                                        ;       Child Loop BB6_611 Depth 3
                                        ;       Child Loop BB6_616 Depth 3
	;; [unrolled: 1-line block ×6, first 2 shown]
                                        ;     Child Loop BB6_677 Depth 2
                                        ;       Child Loop BB6_683 Depth 3
                                        ;       Child Loop BB6_711 Depth 3
	;; [unrolled: 1-line block ×3, first 2 shown]
                                        ;     Child Loop BB6_752 Depth 2
                                        ;       Child Loop BB6_755 Depth 3
                                        ;         Child Loop BB6_763 Depth 4
                                        ;         Child Loop BB6_791 Depth 4
	;; [unrolled: 1-line block ×5, first 2 shown]
                                        ;           Child Loop BB6_843 Depth 5
                                        ;         Child Loop BB6_852 Depth 4
                                        ;         Child Loop BB6_857 Depth 4
                                        ;           Child Loop BB6_858 Depth 5
                                        ;         Child Loop BB6_870 Depth 4
                                        ;         Child Loop BB6_875 Depth 4
	;; [unrolled: 1-line block ×6, first 2 shown]
                                        ;       Child Loop BB6_936 Depth 3
                                        ;         Child Loop BB6_942 Depth 4
                                        ;         Child Loop BB6_970 Depth 4
                                        ;         Child Loop BB6_993 Depth 4
                                        ;     Child Loop BB6_1014 Depth 2
                                        ;       Child Loop BB6_1022 Depth 3
                                        ;       Child Loop BB6_1046 Depth 3
	;; [unrolled: 1-line block ×9, first 2 shown]
                                        ;     Child Loop BB6_1154 Depth 2
                                        ;       Child Loop BB6_1160 Depth 3
                                        ;       Child Loop BB6_1184 Depth 3
	;; [unrolled: 1-line block ×3, first 2 shown]
	v_sub_co_u32 v8, vcc_lo, v22, v114
	v_sub_co_ci_u32_e64 v9, null, v23, v115, vcc_lo
	s_clause 0x1
	buffer_load_dword v3, off, s[0:3], s33 offset:228
	buffer_load_dword v4, off, s[0:3], s33 offset:232
	s_mov_b32 s17, exec_lo
	buffer_store_dword v8, off, s[0:3], s33 offset:192 ; 4-byte Folded Spill
	buffer_store_dword v9, off, s[0:3], s33 offset:196 ; 4-byte Folded Spill
	s_waitcnt vmcnt(0)
	v_cmpx_lt_i64_e64 v[8:9], v[3:4]
	s_cbranch_execz .LBB6_53
; %bb.48:                               ;   in Loop: Header=BB6_47 Depth=1
	s_clause 0x1
	buffer_load_dword v3, off, s[0:3], s33 offset:192
	buffer_load_dword v4, off, s[0:3], s33 offset:196
                                        ; implicit-def: $vgpr8_vgpr9
	s_mov_b32 s16, exec_lo
	s_waitcnt vmcnt(1)
	v_add_co_u32 v10, vcc_lo, s40, v3
	s_waitcnt vmcnt(0)
	v_add_co_ci_u32_e64 v11, null, s41, v4, vcc_lo
	v_or_b32_e32 v3, s28, v11
	v_cmpx_ne_u64_e32 0, v[2:3]
	s_xor_b32 s22, exec_lo, s16
	s_cbranch_execz .LBB6_50
; %bb.49:                               ;   in Loop: Header=BB6_47 Depth=1
	s_add_u32 s18, s25, s20
	s_mov_b32 s21, s20
	s_addc_u32 s19, s28, s20
	v_ashrrev_i32_e32 v14, 31, v11
	s_xor_b64 s[18:19], s[18:19], s[20:21]
	v_cvt_f32_u32_e32 v3, s18
	v_cvt_f32_u32_e32 v8, s19
	s_sub_u32 s16, 0, s18
	s_subb_u32 s61, 0, s19
	v_add_co_u32 v9, vcc_lo, v10, v14
	v_fmac_f32_e32 v3, 0x4f800000, v8
	v_xor_b32_e32 v15, v9, v14
	v_rcp_f32_e32 v3, v3
	v_mul_f32_e32 v3, 0x5f7ffffc, v3
	v_mul_f32_e32 v8, 0x2f800000, v3
	v_trunc_f32_e32 v8, v8
	v_fmac_f32_e32 v3, 0xcf800000, v8
	v_cvt_u32_f32_e32 v8, v8
	v_cvt_u32_f32_e32 v3, v3
	v_readfirstlane_b32 s21, v8
	v_readfirstlane_b32 s23, v3
	s_mul_i32 s62, s16, s21
	v_add_co_ci_u32_e64 v3, null, v11, v14, vcc_lo
	s_mul_hi_u32 s72, s16, s23
	s_mul_i32 s63, s61, s23
	s_add_i32 s62, s72, s62
	s_mul_i32 s73, s16, s23
	s_add_i32 s62, s62, s63
	s_mul_hi_u32 s72, s23, s73
	s_mul_i32 s75, s23, s62
	s_mul_hi_u32 s74, s21, s73
	s_mul_i32 s63, s21, s73
	s_mul_hi_u32 s73, s23, s62
	s_add_u32 s72, s72, s75
	s_addc_u32 s73, 0, s73
	s_mul_hi_u32 s76, s21, s62
	s_add_u32 s63, s72, s63
	s_mul_i32 s62, s21, s62
	s_addc_u32 s63, s73, s74
	s_addc_u32 s72, s76, 0
	s_add_u32 s62, s63, s62
	s_addc_u32 s63, 0, s72
	s_add_u32 s23, s23, s62
	s_cselect_b32 s62, -1, 0
	s_mul_hi_u32 s72, s16, s23
	s_cmp_lg_u32 s62, 0
	s_mul_i32 s62, s16, s23
	s_addc_u32 s21, s21, s63
	s_mul_i32 s61, s61, s23
	s_mul_i32 s16, s16, s21
	s_mul_hi_u32 s63, s23, s62
	s_add_i32 s16, s72, s16
	s_mul_hi_u32 s72, s21, s62
	s_add_i32 s16, s16, s61
	s_mul_i32 s61, s21, s62
	s_mul_i32 s74, s23, s16
	s_mul_hi_u32 s73, s23, s16
	s_add_u32 s63, s63, s74
	s_addc_u32 s73, 0, s73
	s_mul_hi_u32 s62, s21, s16
	s_add_u32 s61, s63, s61
	s_mul_i32 s16, s21, s16
	s_addc_u32 s61, s73, s72
	s_addc_u32 s62, s62, 0
	s_add_u32 s16, s61, s16
	s_addc_u32 s61, 0, s62
	s_add_u32 s16, s23, s16
	s_cselect_b32 s23, -1, 0
	v_xor_b32_e32 v3, v3, v14
	s_cmp_lg_u32 s23, 0
	v_mul_hi_u32 v16, v15, s16
	s_addc_u32 s21, s21, s61
	v_mad_u64_u32 v[8:9], null, v15, s21, 0
	v_mad_u64_u32 v[10:11], null, v3, s16, 0
	;; [unrolled: 1-line block ×3, first 2 shown]
	v_add_co_u32 v8, vcc_lo, v16, v8
	v_add_co_ci_u32_e64 v9, null, 0, v9, vcc_lo
	v_add_co_u32 v8, vcc_lo, v8, v10
	v_add_co_ci_u32_e32 v8, vcc_lo, v9, v11, vcc_lo
	v_add_co_ci_u32_e32 v9, vcc_lo, 0, v13, vcc_lo
	v_add_co_u32 v10, vcc_lo, v8, v12
	v_add_co_ci_u32_e64 v11, null, 0, v9, vcc_lo
	v_mul_lo_u32 v12, s19, v10
	v_mad_u64_u32 v[8:9], null, s18, v10, 0
	v_mul_lo_u32 v13, s18, v11
	v_sub_co_u32 v8, vcc_lo, v15, v8
	v_add3_u32 v9, v9, v13, v12
	v_add_co_u32 v13, s16, v10, 2
	v_add_co_ci_u32_e64 v15, null, 0, v11, s16
	v_sub_nc_u32_e32 v12, v3, v9
	v_sub_co_u32 v16, s16, v8, s18
	v_sub_co_ci_u32_e64 v3, null, v3, v9, vcc_lo
	v_subrev_co_ci_u32_e64 v12, null, s19, v12, vcc_lo
	v_cmp_le_u32_e32 vcc_lo, s18, v16
	v_subrev_co_ci_u32_e64 v12, null, 0, v12, s16
	v_cndmask_b32_e64 v9, 0, -1, vcc_lo
	v_cmp_le_u32_e32 vcc_lo, s19, v12
	v_cndmask_b32_e64 v16, 0, -1, vcc_lo
	v_cmp_le_u32_e32 vcc_lo, s18, v8
	;; [unrolled: 2-line block ×3, first 2 shown]
	v_cndmask_b32_e64 v17, 0, -1, vcc_lo
	v_cmp_eq_u32_e32 vcc_lo, s19, v12
	v_cndmask_b32_e32 v9, v16, v9, vcc_lo
	v_add_co_u32 v12, vcc_lo, v10, 1
	v_add_co_ci_u32_e64 v16, null, 0, v11, vcc_lo
	v_cmp_eq_u32_e32 vcc_lo, s19, v3
	v_cndmask_b32_e32 v3, v17, v8, vcc_lo
	v_cmp_ne_u32_e32 vcc_lo, 0, v9
	v_xor_b32_e32 v9, s20, v14
	v_cmp_ne_u32_e64 s16, 0, v3
	v_cndmask_b32_e32 v3, v12, v13, vcc_lo
	v_cndmask_b32_e32 v8, v16, v15, vcc_lo
	v_cndmask_b32_e64 v3, v10, v3, s16
	v_cndmask_b32_e64 v8, v11, v8, s16
	v_xor_b32_e32 v3, v3, v9
	v_xor_b32_e32 v10, v8, v9
	v_sub_co_u32 v8, vcc_lo, v3, v9
	v_sub_co_ci_u32_e64 v9, null, v10, v9, vcc_lo
                                        ; implicit-def: $vgpr10
.LBB6_50:                               ;   in Loop: Header=BB6_47 Depth=1
	s_andn2_saveexec_b32 s16, s22
	s_cbranch_execz .LBB6_52
; %bb.51:                               ;   in Loop: Header=BB6_47 Depth=1
	v_cvt_f32_u32_e32 v3, s25
	v_rcp_iflag_f32_e32 v3, v3
	v_mul_f32_e32 v3, 0x4f7ffffe, v3
	v_cvt_u32_f32_e32 v3, v3
	v_mul_lo_u32 v8, s60, v3
	v_mul_hi_u32 v8, v3, v8
	v_add_nc_u32_e32 v3, v3, v8
	v_mul_hi_u32 v3, v10, v3
	v_mul_lo_u32 v8, v3, s25
	v_add_nc_u32_e32 v9, 1, v3
	v_sub_nc_u32_e32 v8, v10, v8
	v_subrev_nc_u32_e32 v10, s25, v8
	v_cmp_le_u32_e32 vcc_lo, s25, v8
	v_cndmask_b32_e32 v8, v8, v10, vcc_lo
	v_cndmask_b32_e32 v3, v3, v9, vcc_lo
	v_cmp_le_u32_e32 vcc_lo, s25, v8
	v_add_nc_u32_e32 v9, 1, v3
	v_cndmask_b32_e32 v8, v3, v9, vcc_lo
	v_mov_b32_e32 v9, v2
.LBB6_52:                               ;   in Loop: Header=BB6_47 Depth=1
	s_or_b32 exec_lo, exec_lo, s16
	v_add_co_u32 v3, vcc_lo, v8, 15
	v_add_co_ci_u32_e64 v4, null, 0, v9, vcc_lo
	v_and_b32_e32 v3, -16, v3
	buffer_store_dword v3, off, s[0:3], s33 offset:200 ; 4-byte Folded Spill
	buffer_store_dword v4, off, s[0:3], s33 offset:204 ; 4-byte Folded Spill
.LBB6_53:                               ;   in Loop: Header=BB6_47 Depth=1
	s_or_b32 exec_lo, exec_lo, s17
	s_clause 0x1
	buffer_load_dword v4, off, s[0:3], s33 offset:200
	buffer_load_dword v5, off, s[0:3], s33 offset:204
	v_mov_b32_e32 v21, 0
	s_waitcnt vmcnt(1)
	v_mul_lo_u32 v8, v4, s44
	s_waitcnt vmcnt(0)
	v_mul_lo_u32 v3, v5, s43
	v_mad_u64_u32 v[10:11], null, v4, s43, 0
	v_add3_u32 v11, v11, v8, v3
	s_clause 0x1
	buffer_load_dword v8, off, s[0:3], s33 offset:192
	buffer_load_dword v9, off, s[0:3], s33 offset:196
	s_waitcnt vmcnt(1)
	v_sub_co_u32 v8, vcc_lo, v8, v10
	s_waitcnt vmcnt(0)
	v_sub_co_ci_u32_e64 v9, null, v9, v11, vcc_lo
	v_cmp_lt_i64_e32 vcc_lo, v[4:5], v[8:9]
	v_cndmask_b32_e32 v8, v8, v4, vcc_lo
	v_max_i32_e32 v20, 0, v8
	v_add_nc_u32_e32 v3, 31, v20
	v_lshrrev_b32_e32 v3, 1, v3
	v_and_b32_e32 v9, 0x3ffffff0, v3
	s_clause 0x1
	buffer_load_dword v3, off, s[0:3], s33 offset:244
	buffer_load_dword v4, off, s[0:3], s33 offset:248
	s_waitcnt vmcnt(1)
	v_add_co_u32 v88, vcc_lo, v114, v3
	s_waitcnt vmcnt(0)
	v_add_co_ci_u32_e64 v58, null, v115, v4, vcc_lo
	v_mov_b32_e32 v3, 0
	v_cmp_lt_i32_e32 vcc_lo, 0, v8
	v_max_i32_e32 v8, s45, v9
	s_and_b32 s16, s57, vcc_lo
	s_mov_b32 s18, exec_lo
	s_and_b32 s16, s18, s16
	buffer_store_dword v114, off, s[0:3], s33 offset:220 ; 4-byte Folded Spill
	buffer_store_dword v115, off, s[0:3], s33 offset:224 ; 4-byte Folded Spill
	s_mov_b32 exec_lo, s16
	s_cbranch_execz .LBB6_195
; %bb.54:                               ;   in Loop: Header=BB6_47 Depth=1
	v_mov_b32_e32 v21, 0
	s_mov_b32 s22, 1
	s_mov_b32 s21, -1
	s_mov_b32 s19, 0
	s_branch .LBB6_57
.LBB6_55:                               ;   in Loop: Header=BB6_57 Depth=2
	s_or_b32 exec_lo, exec_lo, s17
	v_add_co_u32 v80, vcc_lo, v80, 2
	v_add_co_ci_u32_e64 v81, null, 0, v81, vcc_lo
	s_waitcnt vmcnt(0) lgkmcnt(0)
	s_waitcnt_vscnt null, 0x0
	flat_store_dwordx2 v[48:49], v[80:81]
.LBB6_56:                               ;   in Loop: Header=BB6_57 Depth=2
	s_or_b32 exec_lo, exec_lo, s16
	v_add_nc_u32_e32 v21, v8, v21
	s_xor_b32 s16, s21, -1
	v_mov_b32_e32 v3, s22
	s_mov_b32 s21, 0
	s_mov_b32 s22, 2
	v_cmp_ge_i32_e32 vcc_lo, v21, v20
	s_or_b32 s16, s16, vcc_lo
	s_and_b32 s16, exec_lo, s16
	s_or_b32 s19, s16, s19
	s_andn2_b32 exec_lo, exec_lo, s19
	s_cbranch_execz .LBB6_194
.LBB6_57:                               ;   Parent Loop BB6_47 Depth=1
                                        ; =>  This Loop Header: Depth=2
                                        ;       Child Loop BB6_65 Depth 3
                                        ;       Child Loop BB6_89 Depth 3
	;; [unrolled: 1-line block ×9, first 2 shown]
	s_and_saveexec_b32 s16, s4
	s_cbranch_execz .LBB6_59
; %bb.58:                               ;   in Loop: Header=BB6_57 Depth=2
	s_trap 2
	ds_read_b64 v[12:13], v0
	s_waitcnt lgkmcnt(0)
	v_add_co_u32 v3, vcc_lo, v12, v88
	v_add_co_ci_u32_e64 v9, null, v13, v58, vcc_lo
	v_ashrrev_i32_e32 v13, 31, v21
	v_add_co_u32 v3, vcc_lo, v3, v10
	v_add_co_ci_u32_e64 v9, null, v9, v11, vcc_lo
	v_add_co_u32 v12, vcc_lo, v3, v21
	v_add_co_ci_u32_e64 v13, null, v9, v13, vcc_lo
	v_mov_b32_e32 v3, v2
	ds_write_b64 v0, v[12:13]
	ds_write_b64 v0, v[2:3]
.LBB6_59:                               ;   in Loop: Header=BB6_57 Depth=2
	s_or_b32 exec_lo, exec_lo, s16
	v_sub_nc_u32_e32 v3, v20, v21
	v_and_b32_e32 v9, 8, v116
	s_mov_b32 s17, exec_lo
	v_min_i32_e32 v8, v8, v3
	v_cmpx_ne_u32_e32 0, v9
	s_cbranch_execz .LBB6_81
; %bb.60:                               ;   in Loop: Header=BB6_57 Depth=2
	s_waitcnt vmcnt(0) lgkmcnt(1)
	v_add_co_u32 v14, vcc_lo, v64, 8
	v_add_co_ci_u32_e64 v15, null, 0, v65, vcc_lo
	v_add_co_u32 v12, vcc_lo, v80, 2
	v_add_co_ci_u32_e64 v13, null, 0, v81, vcc_lo
	s_mov_b32 s23, exec_lo
	v_cmpx_lt_u64_e64 v[14:15], v[12:13]
	s_cbranch_execz .LBB6_72
; %bb.61:                               ;   in Loop: Header=BB6_57 Depth=2
	v_and_b32_e32 v3, 64, v116
	s_mov_b32 s61, 0
	s_mov_b32 s73, 0
                                        ; implicit-def: $sgpr62
                                        ; implicit-def: $sgpr63
                                        ; implicit-def: $sgpr72
	v_cmp_eq_u32_e32 vcc_lo, 0, v3
	s_branch .LBB6_65
.LBB6_62:                               ;   in Loop: Header=BB6_65 Depth=3
	s_waitcnt vmcnt(0) lgkmcnt(0)
	v_add_co_u32 v14, s16, v64, 8
	v_add_co_ci_u32_e64 v15, null, 0, v65, s16
	s_or_b32 s76, s76, exec_lo
	v_cmp_ge_u64_e64 s16, v[14:15], v[12:13]
	s_orn2_b32 s75, s16, exec_lo
.LBB6_63:                               ;   in Loop: Header=BB6_65 Depth=3
	s_or_b32 exec_lo, exec_lo, s78
	s_andn2_b32 s16, s72, exec_lo
	s_and_b32 s72, s76, exec_lo
	s_andn2_b32 s63, s63, exec_lo
	s_and_b32 s75, s75, exec_lo
	s_or_b32 s72, s16, s72
	s_or_b32 s63, s63, s75
.LBB6_64:                               ;   in Loop: Header=BB6_65 Depth=3
	s_or_b32 exec_lo, exec_lo, s74
	s_and_b32 s16, exec_lo, s63
	s_or_b32 s61, s16, s61
	s_andn2_b32 s16, s62, exec_lo
	s_and_b32 s62, s72, exec_lo
	s_or_b32 s62, s16, s62
	s_andn2_b32 exec_lo, exec_lo, s61
	s_cbranch_execz .LBB6_69
.LBB6_65:                               ;   Parent Loop BB6_47 Depth=1
                                        ;     Parent Loop BB6_57 Depth=2
                                        ; =>    This Inner Loop Header: Depth=3
	s_sleep 1
	s_waitcnt vmcnt(0) lgkmcnt(0)
	flat_load_dwordx2 v[64:65], v[48:49] glc dlc
	s_or_b32 s72, s72, exec_lo
	s_or_b32 s63, s63, exec_lo
                                        ; implicit-def: $vgpr3
	s_and_saveexec_b32 s74, vcc_lo
	s_cbranch_execz .LBB6_64
; %bb.66:                               ;   in Loop: Header=BB6_65 Depth=3
	s_cmpk_lt_i32 s73, 0x270f
	s_mov_b32 s75, -1
	s_cselect_b32 s77, -1, 0
	s_cmpk_gt_i32 s73, 0x270e
	s_cbranch_scc0 .LBB6_68
; %bb.67:                               ;   in Loop: Header=BB6_65 Depth=3
	s_trap 2
	ds_read_b64 v[14:15], v0
	s_andn2_b32 s73, s77, exec_lo
	s_mov_b32 s76, 0
	s_waitcnt vmcnt(0) lgkmcnt(0)
	s_waitcnt_vscnt null, 0x0
	flat_load_dword v3, v[14:15] glc dlc
	s_waitcnt vmcnt(0) lgkmcnt(0)
	buffer_gl1_inv
	buffer_gl0_inv
	v_cmp_eq_u32_e64 s16, 0, v3
	s_and_b32 s16, s16, exec_lo
	s_or_b32 s77, s73, s16
	s_mov_b32 s73, 0
	s_and_saveexec_b32 s78, s77
	s_cbranch_execz .LBB6_63
	s_branch .LBB6_62
.LBB6_68:                               ;   in Loop: Header=BB6_65 Depth=3
	s_add_i32 s73, s73, 1
	s_mov_b32 s76, -1
                                        ; implicit-def: $vgpr3
	s_and_saveexec_b32 s78, s77
	s_cbranch_execz .LBB6_63
	s_branch .LBB6_62
.LBB6_69:                               ;   in Loop: Header=BB6_57 Depth=2
	s_or_b32 exec_lo, exec_lo, s61
	s_xor_b32 s16, s62, -1
	s_and_saveexec_b32 s61, s16
	s_xor_b32 s16, exec_lo, s61
	s_cbranch_execz .LBB6_71
; %bb.70:                               ;   in Loop: Header=BB6_57 Depth=2
	v_or_b32_e32 v116, 64, v116
	s_waitcnt vmcnt(0) lgkmcnt(0)
	s_waitcnt_vscnt null, 0x0
	ds_write_b32 v0, v3
	s_trap 2
.LBB6_71:                               ;   in Loop: Header=BB6_57 Depth=2
	s_or_b32 exec_lo, exec_lo, s16
.LBB6_72:                               ;   in Loop: Header=BB6_57 Depth=2
	s_or_b32 exec_lo, exec_lo, s23
	v_and_b32_e32 v3, 0x100, v116
	s_mov_b32 s16, -1
	;;#ASMSTART
	s_wakeup
	;;#ASMEND
                                        ; implicit-def: $vgpr14_vgpr15
	v_cmp_ne_u32_e32 vcc_lo, 0, v3
	v_and_b32_e32 v3, 7, v80
	s_and_saveexec_b32 s23, vcc_lo
	s_cbranch_execz .LBB6_76
; %bb.73:                               ;   in Loop: Header=BB6_57 Depth=2
	v_mad_u64_u32 v[16:17], null, v3, 24, v[6:7]
	v_ashrrev_i32_e32 v9, 31, v8
	flat_load_dword v14, v[16:17]
	flat_store_dwordx2 v[16:17], v[8:9] offset:8
	s_waitcnt vmcnt(0) lgkmcnt(1)
	v_cmp_eq_u32_e64 s16, 1, v14
	v_cmp_ne_u32_e32 vcc_lo, 1, v14
                                        ; implicit-def: $vgpr14_vgpr15
	s_and_saveexec_b32 s61, s16
	s_cbranch_execz .LBB6_75
; %bb.74:                               ;   in Loop: Header=BB6_57 Depth=2
	flat_load_dword v14, v[16:17] offset:4 glc dlc
	s_waitcnt vmcnt(0) lgkmcnt(0)
	v_ashrrev_i32_e32 v15, 31, v14
.LBB6_75:                               ;   in Loop: Header=BB6_57 Depth=2
	s_or_b32 exec_lo, exec_lo, s61
	s_orn2_b32 s16, vcc_lo, exec_lo
.LBB6_76:                               ;   in Loop: Header=BB6_57 Depth=2
	s_or_b32 exec_lo, exec_lo, s23
	s_and_saveexec_b32 s23, s16
; %bb.77:                               ;   in Loop: Header=BB6_57 Depth=2
	v_mad_i64_i32 v[14:15], null, v3, v117, 0
; %bb.78:                               ;   in Loop: Header=BB6_57 Depth=2
	s_or_b32 exec_lo, exec_lo, s23
	v_add_co_u32 v14, vcc_lo, v50, v14
	v_and_b32_e32 v3, 0x2000, v116
	v_add_co_ci_u32_e64 v15, null, v51, v15, vcc_lo
	s_mov_b32 s16, exec_lo
	ds_write_b64 v0, v[14:15] offset:784
	v_cmpx_ne_u32_e32 0, v3
	s_cbranch_execz .LBB6_80
; %bb.79:                               ;   in Loop: Header=BB6_57 Depth=2
	ds_read_b64 v[14:15], v0 offset:872
	s_waitcnt lgkmcnt(0)
	v_add_co_u32 v14, vcc_lo, v14, 1
	v_add_co_ci_u32_e64 v15, null, 0, v15, vcc_lo
	ds_write_b64 v0, v[14:15] offset:872
.LBB6_80:                               ;   in Loop: Header=BB6_57 Depth=2
	s_or_b32 exec_lo, exec_lo, s16
	v_mov_b32_e32 v81, v13
	v_mov_b32_e32 v80, v12
.LBB6_81:                               ;   in Loop: Header=BB6_57 Depth=2
	s_or_b32 exec_lo, exec_lo, s17
	s_and_saveexec_b32 s16, s6
	s_cbranch_execz .LBB6_100
; %bb.82:                               ;   in Loop: Header=BB6_57 Depth=2
	s_and_saveexec_b32 s17, s29
	s_xor_b32 s17, exec_lo, s17
	s_cbranch_execz .LBB6_97
; %bb.83:                               ;   in Loop: Header=BB6_57 Depth=2
	s_and_saveexec_b32 s23, s11
	s_cbranch_execz .LBB6_96
; %bb.84:                               ;   in Loop: Header=BB6_57 Depth=2
	s_mov_b32 s62, exec_lo
	s_mov_b32 s61, exec_lo
	v_mbcnt_lo_u32_b32 v3, s62, 0
	s_waitcnt vmcnt(0) lgkmcnt(0)
	s_waitcnt_vscnt null, 0x0
	buffer_gl1_inv
	buffer_gl0_inv
	v_cmpx_eq_u32_e32 0, v3
	s_cbranch_execz .LBB6_86
; %bb.85:                               ;   in Loop: Header=BB6_57 Depth=2
	s_bcnt1_i32_b32 s62, s62
	v_mov_b32_e32 v13, v2
	v_mov_b32_e32 v12, s62
	ds_add_u64 v0, v[12:13]
	s_trap 2
.LBB6_86:                               ;   in Loop: Header=BB6_57 Depth=2
	s_or_b32 exec_lo, exec_lo, s61
	s_trap 2
	ds_read_b64 v[12:13], v0
	s_waitcnt lgkmcnt(0)
	buffer_gl0_inv
	v_add_co_u32 v54, vcc_lo, v54, v119
	v_add_co_ci_u32_e64 v55, null, 0, v55, vcc_lo
	s_mov_b32 s61, exec_lo
	v_cmpx_lt_u64_e64 v[12:13], v[54:55]
	s_cbranch_execz .LBB6_95
; %bb.87:                               ;   in Loop: Header=BB6_57 Depth=2
	s_mov_b32 s62, 0
	s_mov_b32 s73, 0
                                        ; implicit-def: $sgpr63
                                        ; implicit-def: $sgpr72
	s_inst_prefetch 0x1
	s_branch .LBB6_89
	.p2align	6
.LBB6_88:                               ;   in Loop: Header=BB6_89 Depth=3
	s_or_b32 exec_lo, exec_lo, s75
	s_and_b32 s74, exec_lo, s76
	s_or_b32 s62, s74, s62
	s_andn2_b32 s63, s63, exec_lo
	s_and_b32 s74, s72, exec_lo
	s_or_b32 s63, s63, s74
	s_andn2_b32 exec_lo, exec_lo, s62
	s_cbranch_execz .LBB6_93
.LBB6_89:                               ;   Parent Loop BB6_47 Depth=1
                                        ;     Parent Loop BB6_57 Depth=2
                                        ; =>    This Inner Loop Header: Depth=3
	s_add_i32 s73, s73, 1
	s_cmpk_lg_i32 s73, 0x2710
	s_cselect_b32 s74, -1, 0
	s_and_b32 vcc_lo, exec_lo, s74
	s_cbranch_vccz .LBB6_91
; %bb.90:                               ;   in Loop: Header=BB6_89 Depth=3
	s_mov_b32 s76, -1
	s_or_b32 s72, s72, exec_lo
	s_and_saveexec_b32 s75, s74
	s_cbranch_execz .LBB6_88
	s_branch .LBB6_92
	.p2align	6
.LBB6_91:                               ;   in Loop: Header=BB6_89 Depth=3
	s_trap 2
	ds_read_b64 v[12:13], v0
	s_andn2_b32 s74, s74, exec_lo
	s_mov_b32 s73, 0
	s_waitcnt lgkmcnt(0)
	flat_load_dword v3, v[12:13] glc dlc
	s_waitcnt vmcnt(0) lgkmcnt(0)
	buffer_gl1_inv
	buffer_gl0_inv
	v_cmp_eq_u32_e32 vcc_lo, 0, v3
	s_and_b32 s75, vcc_lo, exec_lo
	s_or_b32 s74, s74, s75
	s_mov_b32 s76, -1
	s_or_b32 s72, s72, exec_lo
	s_and_saveexec_b32 s75, s74
	s_cbranch_execz .LBB6_88
.LBB6_92:                               ;   in Loop: Header=BB6_89 Depth=3
	s_sleep 1
	s_trap 2
	ds_read_b64 v[12:13], v0
	s_waitcnt lgkmcnt(0)
	buffer_gl0_inv
	s_andn2_b32 s72, s72, exec_lo
	v_cmp_ge_u64_e32 vcc_lo, v[12:13], v[54:55]
	s_orn2_b32 s76, vcc_lo, exec_lo
	s_branch .LBB6_88
.LBB6_93:                               ;   in Loop: Header=BB6_57 Depth=2
	s_inst_prefetch 0x2
	s_or_b32 exec_lo, exec_lo, s62
	s_and_saveexec_b32 s62, s63
	s_xor_b32 s62, exec_lo, s62
	s_cbranch_execz .LBB6_95
; %bb.94:                               ;   in Loop: Header=BB6_57 Depth=2
	ds_write_b32 v0, v41
	s_trap 2
.LBB6_95:                               ;   in Loop: Header=BB6_57 Depth=2
	s_or_b32 exec_lo, exec_lo, s61
	;;#ASMSTART
	s_wakeup
	;;#ASMEND
.LBB6_96:                               ;   in Loop: Header=BB6_57 Depth=2
	s_or_b32 exec_lo, exec_lo, s23
.LBB6_97:                               ;   in Loop: Header=BB6_57 Depth=2
	s_andn2_saveexec_b32 s17, s17
	s_cbranch_execz .LBB6_99
; %bb.98:                               ;   in Loop: Header=BB6_57 Depth=2
	s_waitcnt vmcnt(0) lgkmcnt(0)
	s_waitcnt_vscnt null, 0x0
	buffer_gl1_inv
	buffer_gl0_inv
	s_barrier
.LBB6_99:                               ;   in Loop: Header=BB6_57 Depth=2
	s_or_b32 exec_lo, exec_lo, s17
.LBB6_100:                              ;   in Loop: Header=BB6_57 Depth=2
	s_or_b32 exec_lo, exec_lo, s16
	s_trap 2
	ds_read_b32 v3, v0
	v_and_b32_e32 v9, 0x4000, v116
	s_xor_b32 s16, s5, -1
	v_cmp_ne_u32_e32 vcc_lo, 0, v9
	s_and_b32 s17, s16, vcc_lo
	s_and_saveexec_b32 s16, s17
	s_cbranch_execz .LBB6_119
; %bb.101:                              ;   in Loop: Header=BB6_57 Depth=2
	s_and_saveexec_b32 s17, s29
	s_xor_b32 s17, exec_lo, s17
	s_cbranch_execz .LBB6_116
; %bb.102:                              ;   in Loop: Header=BB6_57 Depth=2
	s_and_saveexec_b32 s23, s11
	s_cbranch_execz .LBB6_115
; %bb.103:                              ;   in Loop: Header=BB6_57 Depth=2
	s_mov_b32 s62, exec_lo
	s_mov_b32 s61, exec_lo
	v_mbcnt_lo_u32_b32 v9, s62, 0
	s_waitcnt vmcnt(0) lgkmcnt(0)
	s_waitcnt_vscnt null, 0x0
	buffer_gl1_inv
	buffer_gl0_inv
	v_cmpx_eq_u32_e32 0, v9
	s_cbranch_execz .LBB6_105
; %bb.104:                              ;   in Loop: Header=BB6_57 Depth=2
	s_bcnt1_i32_b32 s62, s62
	v_mov_b32_e32 v13, v2
	v_mov_b32_e32 v12, s62
	ds_add_u64 v0, v[12:13]
	s_trap 2
.LBB6_105:                              ;   in Loop: Header=BB6_57 Depth=2
	s_or_b32 exec_lo, exec_lo, s61
	s_trap 2
	ds_read_b64 v[12:13], v0
	s_waitcnt lgkmcnt(0)
	buffer_gl0_inv
	v_add_co_u32 v54, vcc_lo, v54, v119
	v_add_co_ci_u32_e64 v55, null, 0, v55, vcc_lo
	s_mov_b32 s61, exec_lo
	v_cmpx_lt_u64_e64 v[12:13], v[54:55]
	s_cbranch_execz .LBB6_114
; %bb.106:                              ;   in Loop: Header=BB6_57 Depth=2
	s_mov_b32 s62, 0
	s_mov_b32 s73, 0
                                        ; implicit-def: $sgpr63
                                        ; implicit-def: $sgpr72
	s_inst_prefetch 0x1
	s_branch .LBB6_108
	.p2align	6
.LBB6_107:                              ;   in Loop: Header=BB6_108 Depth=3
	s_or_b32 exec_lo, exec_lo, s75
	s_and_b32 s74, exec_lo, s76
	s_or_b32 s62, s74, s62
	s_andn2_b32 s63, s63, exec_lo
	s_and_b32 s74, s72, exec_lo
	s_or_b32 s63, s63, s74
	s_andn2_b32 exec_lo, exec_lo, s62
	s_cbranch_execz .LBB6_112
.LBB6_108:                              ;   Parent Loop BB6_47 Depth=1
                                        ;     Parent Loop BB6_57 Depth=2
                                        ; =>    This Inner Loop Header: Depth=3
	s_add_i32 s73, s73, 1
	s_cmpk_lg_i32 s73, 0x2710
	s_cselect_b32 s74, -1, 0
	s_and_b32 vcc_lo, exec_lo, s74
	s_cbranch_vccz .LBB6_110
; %bb.109:                              ;   in Loop: Header=BB6_108 Depth=3
	s_mov_b32 s76, -1
	s_or_b32 s72, s72, exec_lo
	s_and_saveexec_b32 s75, s74
	s_cbranch_execz .LBB6_107
	s_branch .LBB6_111
	.p2align	6
.LBB6_110:                              ;   in Loop: Header=BB6_108 Depth=3
	s_trap 2
	ds_read_b64 v[12:13], v0
	s_andn2_b32 s74, s74, exec_lo
	s_mov_b32 s73, 0
	s_waitcnt lgkmcnt(0)
	flat_load_dword v9, v[12:13] glc dlc
	s_waitcnt vmcnt(0) lgkmcnt(0)
	buffer_gl1_inv
	buffer_gl0_inv
	v_cmp_eq_u32_e32 vcc_lo, 0, v9
	s_and_b32 s75, vcc_lo, exec_lo
	s_or_b32 s74, s74, s75
	s_mov_b32 s76, -1
	s_or_b32 s72, s72, exec_lo
	s_and_saveexec_b32 s75, s74
	s_cbranch_execz .LBB6_107
.LBB6_111:                              ;   in Loop: Header=BB6_108 Depth=3
	s_sleep 1
	s_trap 2
	ds_read_b64 v[12:13], v0
	s_waitcnt lgkmcnt(0)
	buffer_gl0_inv
	s_andn2_b32 s72, s72, exec_lo
	v_cmp_ge_u64_e32 vcc_lo, v[12:13], v[54:55]
	s_orn2_b32 s76, vcc_lo, exec_lo
	s_branch .LBB6_107
.LBB6_112:                              ;   in Loop: Header=BB6_57 Depth=2
	s_inst_prefetch 0x2
	s_or_b32 exec_lo, exec_lo, s62
	s_and_saveexec_b32 s62, s63
	s_xor_b32 s62, exec_lo, s62
	s_cbranch_execz .LBB6_114
; %bb.113:                              ;   in Loop: Header=BB6_57 Depth=2
	ds_write_b32 v0, v41
	s_trap 2
.LBB6_114:                              ;   in Loop: Header=BB6_57 Depth=2
	s_or_b32 exec_lo, exec_lo, s61
	;;#ASMSTART
	s_wakeup
	;;#ASMEND
.LBB6_115:                              ;   in Loop: Header=BB6_57 Depth=2
	s_or_b32 exec_lo, exec_lo, s23
.LBB6_116:                              ;   in Loop: Header=BB6_57 Depth=2
	s_andn2_saveexec_b32 s17, s17
	s_cbranch_execz .LBB6_118
; %bb.117:                              ;   in Loop: Header=BB6_57 Depth=2
	s_waitcnt vmcnt(0) lgkmcnt(0)
	s_waitcnt_vscnt null, 0x0
	buffer_gl1_inv
	buffer_gl0_inv
	s_barrier
.LBB6_118:                              ;   in Loop: Header=BB6_57 Depth=2
	s_or_b32 exec_lo, exec_lo, s17
.LBB6_119:                              ;   in Loop: Header=BB6_57 Depth=2
	s_or_b32 exec_lo, exec_lo, s16
	s_trap 2
	ds_read_b64 v[12:13], v0
	s_waitcnt lgkmcnt(0)
	v_cmp_eq_u64_e32 vcc_lo, 0, v[12:13]
	s_cbranch_vccnz .LBB6_127
; %bb.120:                              ;   in Loop: Header=BB6_57 Depth=2
	s_trap 2
	ds_read_b64 v[14:15], v0
	s_waitcnt lgkmcnt(0)
	v_cmp_eq_u64_e32 vcc_lo, 0, v[14:15]
	s_cbranch_vccnz .LBB6_127
; %bb.121:                              ;   in Loop: Header=BB6_57 Depth=2
	s_mov_b32 s16, -1
	s_and_saveexec_b32 s17, s12
	s_cbranch_execz .LBB6_123
; %bb.122:                              ;   in Loop: Header=BB6_57 Depth=2
	ds_read_b32 v9, v0 offset:720
	s_waitcnt lgkmcnt(0)
	v_and_b32_e32 v9, 15, v9
	v_cmp_eq_u32_e32 vcc_lo, 0, v9
	s_orn2_b32 s16, vcc_lo, exec_lo
.LBB6_123:                              ;   in Loop: Header=BB6_57 Depth=2
	s_or_b32 exec_lo, exec_lo, s17
	s_and_saveexec_b32 s17, s14
	s_cbranch_execz .LBB6_125
; %bb.124:                              ;   in Loop: Header=BB6_57 Depth=2
	ds_read_b32 v9, v0 offset:784
	s_waitcnt lgkmcnt(0)
	v_and_b32_e32 v9, 15, v9
	v_cmp_eq_u32_e32 vcc_lo, 0, v9
	s_and_b32 s23, s16, vcc_lo
	s_andn2_b32 s16, s16, exec_lo
	s_and_b32 s23, s23, exec_lo
	s_or_b32 s16, s16, s23
.LBB6_125:                              ;   in Loop: Header=BB6_57 Depth=2
	s_or_b32 exec_lo, exec_lo, s17
	v_cmp_eq_u32_e32 vcc_lo, 0, v3
	s_xor_b32 s16, s16, -1
	v_mov_b32_e32 v17, v0
	v_cndmask_b32_e64 v9, 0, 1, s16
	v_mov_b32_e32 v25, v60
	v_cndmask_b32_e32 v3, 0, v8, vcc_lo
	s_mov_b32 s16, -1
	v_cmp_ne_u32_e32 vcc_lo, 0, v9
	v_mov_b32_e32 v9, 0
	v_mov_b32_e32 v16, v3
	s_cbranch_vccz .LBB6_132
; %bb.126:                              ;   in Loop: Header=BB6_57 Depth=2
	s_and_saveexec_b32 s17, s16
	s_cbranch_execnz .LBB6_145
	s_branch .LBB6_153
.LBB6_127:                              ;   in Loop: Header=BB6_57 Depth=2
	s_mov_b32 s16, 0
	s_and_saveexec_b32 s17, s6
	s_cbranch_execnz .LBB6_154
.LBB6_128:                              ;   in Loop: Header=BB6_57 Depth=2
	s_or_b32 exec_lo, exec_lo, s17
                                        ; implicit-def: $vgpr3
	s_and_saveexec_b32 s17, s13
	s_xor_b32 s17, exec_lo, s17
	s_cbranch_execz .LBB6_172
.LBB6_129:                              ;   in Loop: Header=BB6_57 Depth=2
	v_and_b32_e32 v3, 16, v116
	v_cmp_ne_u32_e32 vcc_lo, 0, v3
	v_and_b32_e32 v3, 16, v116
	s_and_b32 s23, vcc_lo, s16
	s_and_saveexec_b32 s16, s23
	s_cbranch_execz .LBB6_131
; %bb.130:                              ;   in Loop: Header=BB6_57 Depth=2
	v_mov_b32_e32 v3, 1
	s_waitcnt vmcnt(0) lgkmcnt(0)
	s_waitcnt_vscnt null, 0x0
	buffer_gl1_inv
	buffer_gl0_inv
.LBB6_131:                              ;   in Loop: Header=BB6_57 Depth=2
	s_or_b32 exec_lo, exec_lo, s16
	s_andn2_saveexec_b32 s16, s17
	s_cbranch_execz .LBB6_191
	s_branch .LBB6_173
.LBB6_132:                              ;   in Loop: Header=BB6_57 Depth=2
	v_ashrrev_i32_e32 v9, 31, v3
	s_mov_b32 s17, exec_lo
	v_lshrrev_b32_e32 v9, 20, v9
	v_add_nc_u32_e32 v9, v3, v9
	v_ashrrev_i32_e32 v9, 12, v9
	v_sub_nc_u32_e32 v22, v9, v60
	v_cmpx_lt_i32_e32 0, v22
	s_cbranch_execz .LBB6_136
; %bb.133:                              ;   in Loop: Header=BB6_57 Depth=2
	v_mov_b32_e32 v17, v15
	v_mov_b32_e32 v19, v13
	;; [unrolled: 1-line block ×4, first 2 shown]
	s_mov_b32 s23, 0
.LBB6_134:                              ;   Parent Loop BB6_47 Depth=1
                                        ;     Parent Loop BB6_57 Depth=2
                                        ; =>    This Inner Loop Header: Depth=3
	v_add_co_u32 v96, vcc_lo, v73, v18
	v_add_co_ci_u32_e64 v97, null, v77, v19, vcc_lo
	v_sub_nc_u32_e32 v22, v22, v119
	v_add_co_u32 v93, vcc_lo, 0x800, v96
	v_add_co_ci_u32_e64 v94, null, 0, v97, vcc_lo
	s_clause 0x3
	global_load_dwordx4 v[23:26], v[96:97], off slc
	global_load_dwordx4 v[32:35], v[96:97], off offset:512 slc
	global_load_dwordx4 v[84:87], v[96:97], off offset:1024 slc
	;; [unrolled: 1-line block ×3, first 2 shown]
	s_clause 0x3
	global_load_dwordx4 v[100:103], v[93:94], off slc
	global_load_dwordx4 v[112:115], v[93:94], off offset:512 slc
	global_load_dwordx4 v[89:92], v[93:94], off offset:1024 slc
	global_load_dwordx4 v[104:107], v[93:94], off offset:1536 slc
	v_add_co_u32 v93, vcc_lo, v73, v16
	v_add_co_ci_u32_e64 v94, null, v77, v17, vcc_lo
	v_add_co_u32 v18, vcc_lo, v18, v45
	v_add_co_ci_u32_e64 v19, null, 0, v19, vcc_lo
	;; [unrolled: 2-line block ×3, first 2 shown]
	v_cmp_gt_i32_e32 vcc_lo, 1, v22
	v_add_co_u32 v108, s16, 0x800, v93
	v_add_co_ci_u32_e64 v109, null, 0, v94, s16
	s_or_b32 s23, vcc_lo, s23
	s_waitcnt vmcnt(7)
	global_store_dwordx4 v[93:94], v[23:26], off glc slc
	s_waitcnt vmcnt(6)
	global_store_dwordx4 v[93:94], v[32:35], off offset:512 glc slc
	s_waitcnt vmcnt(5)
	global_store_dwordx4 v[93:94], v[84:87], off offset:1024 glc slc
	;; [unrolled: 2-line block ×3, first 2 shown]
	s_waitcnt vmcnt(3)
	global_store_dwordx4 v[108:109], v[100:103], off glc slc
	s_waitcnt vmcnt(2)
	global_store_dwordx4 v[108:109], v[112:115], off offset:512 glc slc
	s_waitcnt vmcnt(1)
	global_store_dwordx4 v[108:109], v[89:92], off offset:1024 glc slc
	s_waitcnt vmcnt(0)
	global_store_dwordx4 v[108:109], v[104:107], off offset:1536 glc slc
	s_andn2_b32 exec_lo, exec_lo, s23
	s_cbranch_execnz .LBB6_134
; %bb.135:                              ;   in Loop: Header=BB6_57 Depth=2
	s_or_b32 exec_lo, exec_lo, s23
	s_clause 0x1
	buffer_load_dword v114, off, s[0:3], s33 offset:220
	buffer_load_dword v115, off, s[0:3], s33 offset:224
.LBB6_136:                              ;   in Loop: Header=BB6_57 Depth=2
	s_or_b32 exec_lo, exec_lo, s17
	v_lshlrev_b32_e32 v18, 12, v9
	v_mov_b32_e32 v9, 0
	s_mov_b32 s16, 0
	s_mov_b32 s23, exec_lo
                                        ; implicit-def: $vgpr16
                                        ; implicit-def: $vgpr17
                                        ; implicit-def: $vgpr25
	v_cmpx_ne_u32_e64 v3, v18
	s_cbranch_execz .LBB6_144
; %bb.137:                              ;   in Loop: Header=BB6_57 Depth=2
	buffer_load_dword v1, off, s[0:3], s33 offset:188 ; 4-byte Folded Reload
	v_lshlrev_b32_e32 v9, 5, v22
	v_sub_nc_u32_e32 v17, v3, v18
	s_mov_b32 s61, exec_lo
	v_ashrrev_i32_e32 v19, 31, v17
	v_lshrrev_b32_e32 v19, 23, v19
	v_add_nc_u32_e32 v24, v17, v19
	v_and_b32_e32 v19, 0xfffffe00, v24
	v_ashrrev_i32_e32 v24, 9, v24
	v_sub_nc_u32_e32 v23, v17, v19
	v_cmp_lt_i32_e32 vcc_lo, 15, v23
	v_add_co_ci_u32_e64 v24, null, 0, v24, vcc_lo
	s_waitcnt vmcnt(0)
	v_sub_nc_u32_e32 v9, v1, v9
	v_ashrrev_i32_e32 v16, 31, v9
	v_lshrrev_b32_e32 v16, 27, v16
	v_add_nc_u32_e32 v16, v9, v16
	v_and_b32_e32 v22, 0xffffffe0, v16
	v_ashrrev_i32_e32 v25, 5, v16
	v_sub_nc_u32_e32 v22, v9, v22
	v_sub_nc_u32_e32 v24, v24, v25
	v_lshlrev_b32_e32 v9, 4, v22
	v_lshl_add_u32 v16, v25, 9, v9
	v_sub_nc_u32_e32 v9, v17, v16
	v_cmpx_lt_i32_e32 15, v9
	s_cbranch_execz .LBB6_141
; %bb.138:                              ;   in Loop: Header=BB6_57 Depth=2
	v_add_nc_u32_e32 v16, v16, v18
	s_mov_b32 s62, 0
	v_ashrrev_i32_e32 v17, 31, v16
	.p2align	6
.LBB6_139:                              ;   Parent Loop BB6_47 Depth=1
                                        ;     Parent Loop BB6_57 Depth=2
                                        ; =>    This Inner Loop Header: Depth=3
	v_add_co_u32 v25, s16, v12, v16
	v_add_co_ci_u32_e64 v26, null, v13, v17, s16
	v_sub_nc_u32_e32 v9, v9, v46
	v_sub_nc_u32_e32 v24, v24, v119
	global_load_dwordx4 v[32:35], v[25:26], off slc
	v_add_co_u32 v25, s16, v14, v16
	v_add_co_ci_u32_e64 v26, null, v15, v17, s16
	v_cmp_gt_i32_e64 s16, 16, v9
	v_add_co_u32 v16, s17, v16, v46
	v_add_co_ci_u32_e64 v17, null, 0, v17, s17
	s_or_b32 s62, s16, s62
	s_waitcnt vmcnt(0)
	global_store_dwordx4 v[25:26], v[32:35], off glc slc
	s_andn2_b32 exec_lo, exec_lo, s62
	s_cbranch_execnz .LBB6_139
; %bb.140:                              ;   in Loop: Header=BB6_57 Depth=2
	s_or_b32 exec_lo, exec_lo, s62
.LBB6_141:                              ;   in Loop: Header=BB6_57 Depth=2
	s_or_b32 exec_lo, exec_lo, s61
	v_and_b32_e32 v26, 15, v3
	v_mov_b32_e32 v9, 0
	s_mov_b32 s17, 0
	s_mov_b32 s61, exec_lo
                                        ; implicit-def: $vgpr17
                                        ; implicit-def: $vgpr25
	v_cndmask_b32_e32 v16, v23, v26, vcc_lo
	v_cmpx_ne_u32_e32 0, v16
	s_cbranch_execz .LBB6_143
; %bb.142:                              ;   in Loop: Header=BB6_57 Depth=2
	v_cmp_lt_i32_e64 s16, 0, v24
	s_mov_b32 s17, exec_lo
	v_cndmask_b32_e64 v9, 0, v119, s16
	v_sub_nc_u32_e32 v9, v9, v24
	v_lshl_add_u32 v17, v9, 5, v22
	v_sub_nc_u32_e32 v22, v23, v26
	v_ashrrev_i32_e32 v9, 31, v17
	v_cndmask_b32_e32 v22, 0, v22, vcc_lo
	v_lshrrev_b32_e32 v9, 27, v9
	v_add_nc_u32_e32 v23, v17, v9
	v_add3_u32 v9, v19, v18, v22
	v_ashrrev_i32_e32 v25, 5, v23
.LBB6_143:                              ;   in Loop: Header=BB6_57 Depth=2
	s_or_b32 exec_lo, exec_lo, s61
	s_and_b32 s16, s17, exec_lo
.LBB6_144:                              ;   in Loop: Header=BB6_57 Depth=2
	s_or_b32 exec_lo, exec_lo, s23
	s_and_saveexec_b32 s17, s16
	s_cbranch_execz .LBB6_153
.LBB6_145:                              ;   in Loop: Header=BB6_57 Depth=2
	v_ashrrev_i32_e32 v18, 31, v16
	v_ashrrev_i32_e32 v19, 31, v17
	s_mov_b32 s16, exec_lo
	v_lshrrev_b32_e32 v18, 22, v18
	v_lshrrev_b32_e32 v19, 27, v19
	v_add_nc_u32_e32 v18, v16, v18
	v_ashrrev_i32_e32 v22, 10, v18
	v_sub_nc_u32_e32 v18, v22, v25
	v_cmpx_lt_i32_e32 0, v18
	s_cbranch_execz .LBB6_149
; %bb.146:                              ;   in Loop: Header=BB6_57 Depth=2
	v_add_nc_u32_e32 v23, v17, v19
	v_lshlrev_b32_e32 v24, 10, v25
	s_mov_b32 s23, 0
	v_and_b32_e32 v23, 0xffffffe0, v23
	v_sub_nc_u32_e32 v23, v17, v23
	v_add3_u32 v23, v9, v23, v24
	v_ashrrev_i32_e32 v24, 31, v23
.LBB6_147:                              ;   Parent Loop BB6_47 Depth=1
                                        ;     Parent Loop BB6_57 Depth=2
                                        ; =>    This Inner Loop Header: Depth=3
	v_add_co_u32 v25, vcc_lo, v23, v12
	v_add_co_ci_u32_e64 v26, null, v24, v13, vcc_lo
	v_sub_nc_u32_e32 v18, v18, v119
	s_clause 0x12
	flat_load_ubyte v27, v[25:26] slc
	flat_load_ubyte v32, v[25:26] offset:32 slc
	flat_load_ubyte v33, v[25:26] offset:64 slc
	flat_load_ubyte v34, v[25:26] offset:96 slc
	flat_load_ubyte v35, v[25:26] offset:128 slc
	flat_load_ubyte v84, v[25:26] offset:160 slc
	flat_load_ubyte v85, v[25:26] offset:192 slc
	flat_load_ubyte v86, v[25:26] offset:224 slc
	flat_load_ubyte v87, v[25:26] offset:256 slc
	flat_load_ubyte v96, v[25:26] offset:288 slc
	flat_load_ubyte v97, v[25:26] offset:320 slc
	flat_load_ubyte v98, v[25:26] offset:352 slc
	flat_load_ubyte v99, v[25:26] offset:384 slc
	flat_load_ubyte v100, v[25:26] offset:416 slc
	flat_load_ubyte v101, v[25:26] offset:448 slc
	flat_load_ubyte v102, v[25:26] offset:480 slc
	flat_load_ubyte v103, v[25:26] offset:512 slc
	flat_load_ubyte v112, v[25:26] offset:544 slc
	flat_load_ubyte v113, v[25:26] offset:576 slc
	s_waitcnt vmcnt(20)
	flat_load_ubyte v114, v[25:26] offset:608 slc
	s_waitcnt vmcnt(20)
	s_clause 0xb
	flat_load_ubyte v115, v[25:26] offset:640 slc
	flat_load_ubyte v89, v[25:26] offset:672 slc
	;; [unrolled: 1-line block ×12, first 2 shown]
	v_add_co_u32 v25, vcc_lo, v23, v14
	v_add_co_ci_u32_e64 v26, null, v24, v15, vcc_lo
	v_add_co_u32 v12, vcc_lo, v12, v47
	v_add_co_ci_u32_e64 v13, null, 0, v13, vcc_lo
	;; [unrolled: 2-line block ×3, first 2 shown]
	v_cmp_gt_i32_e32 vcc_lo, 1, v18
	s_waitcnt vmcnt(31) lgkmcnt(31)
	flat_store_byte v[25:26], v27 glc slc
	s_waitcnt vmcnt(30) lgkmcnt(31)
	flat_store_byte v[25:26], v32 offset:32 glc slc
	s_waitcnt vmcnt(29) lgkmcnt(31)
	flat_store_byte v[25:26], v33 offset:64 glc slc
	;; [unrolled: 2-line block ×31, first 2 shown]
	s_or_b32 s23, vcc_lo, s23
	s_andn2_b32 exec_lo, exec_lo, s23
	s_cbranch_execnz .LBB6_147
; %bb.148:                              ;   in Loop: Header=BB6_57 Depth=2
	s_or_b32 exec_lo, exec_lo, s23
	s_clause 0x1
	buffer_load_dword v114, off, s[0:3], s33 offset:220
	buffer_load_dword v115, off, s[0:3], s33 offset:224
.LBB6_149:                              ;   in Loop: Header=BB6_57 Depth=2
	s_or_b32 exec_lo, exec_lo, s16
	v_lshlrev_b32_e32 v12, 10, v22
	v_cmp_ne_u32_e32 vcc_lo, v16, v12
	s_and_b32 exec_lo, exec_lo, vcc_lo
	s_cbranch_execz .LBB6_153
; %bb.150:                              ;   in Loop: Header=BB6_57 Depth=2
	v_add_nc_u32_e32 v13, v17, v19
	v_lshlrev_b32_e32 v14, 5, v18
	v_and_b32_e32 v13, 0xffffffe0, v13
	v_sub_nc_u32_e32 v13, v17, v13
	v_sub_nc_u32_e32 v13, v13, v14
	v_add_nc_u32_e32 v15, v12, v13
	v_sub_nc_u32_e32 v14, v16, v15
	v_cmp_lt_i32_e32 vcc_lo, 0, v14
	s_and_b32 exec_lo, exec_lo, vcc_lo
	s_cbranch_execz .LBB6_153
; %bb.151:                              ;   in Loop: Header=BB6_57 Depth=2
	s_trap 2
	ds_read_b64 v[12:13], v0
	v_add_nc_u32_e32 v9, v15, v9
	s_mov_b32 s23, 0
	v_ashrrev_i32_e32 v15, 31, v9
	.p2align	6
.LBB6_152:                              ;   Parent Loop BB6_47 Depth=1
                                        ;     Parent Loop BB6_57 Depth=2
                                        ; =>    This Inner Loop Header: Depth=3
	s_waitcnt lgkmcnt(0)
	v_add_co_u32 v16, vcc_lo, v12, v9
	v_add_co_ci_u32_e64 v17, null, v13, v15, vcc_lo
	v_sub_nc_u32_e32 v14, v14, v40
	v_add_co_u32 v9, s16, v9, v40
	flat_load_ubyte v18, v[16:17] slc
	v_add_co_ci_u32_e64 v15, null, 0, v15, s16
	v_cmp_gt_i32_e32 vcc_lo, 1, v14
	s_or_b32 s23, vcc_lo, s23
	s_waitcnt vmcnt(0) lgkmcnt(0)
	flat_store_byte v[16:17], v18 glc slc
	s_andn2_b32 exec_lo, exec_lo, s23
	s_cbranch_execnz .LBB6_152
.LBB6_153:                              ;   in Loop: Header=BB6_57 Depth=2
	s_or_b32 exec_lo, exec_lo, s17
	v_cmp_lt_i32_e64 s16, 0, v3
	s_and_saveexec_b32 s17, s6
	s_cbranch_execz .LBB6_128
.LBB6_154:                              ;   in Loop: Header=BB6_57 Depth=2
	s_and_saveexec_b32 s23, s29
	s_xor_b32 s23, exec_lo, s23
	s_cbranch_execz .LBB6_169
; %bb.155:                              ;   in Loop: Header=BB6_57 Depth=2
	s_and_saveexec_b32 s61, s11
	s_cbranch_execz .LBB6_168
; %bb.156:                              ;   in Loop: Header=BB6_57 Depth=2
	s_mov_b32 s63, exec_lo
	s_mov_b32 s62, exec_lo
	v_mbcnt_lo_u32_b32 v3, s63, 0
	s_waitcnt vmcnt(0) lgkmcnt(0)
	s_waitcnt_vscnt null, 0x0
	buffer_gl1_inv
	buffer_gl0_inv
	v_cmpx_eq_u32_e32 0, v3
	s_cbranch_execz .LBB6_158
; %bb.157:                              ;   in Loop: Header=BB6_57 Depth=2
	s_bcnt1_i32_b32 s63, s63
	v_mov_b32_e32 v13, v2
	v_mov_b32_e32 v12, s63
	ds_add_u64 v0, v[12:13]
	s_trap 2
.LBB6_158:                              ;   in Loop: Header=BB6_57 Depth=2
	s_or_b32 exec_lo, exec_lo, s62
	s_trap 2
	ds_read_b64 v[12:13], v0
	s_waitcnt lgkmcnt(0)
	buffer_gl0_inv
	v_add_co_u32 v54, vcc_lo, v54, v119
	v_add_co_ci_u32_e64 v55, null, 0, v55, vcc_lo
	s_mov_b32 s62, exec_lo
	v_cmpx_lt_u64_e64 v[12:13], v[54:55]
	s_cbranch_execz .LBB6_167
; %bb.159:                              ;   in Loop: Header=BB6_57 Depth=2
	s_mov_b32 s63, 0
	s_mov_b32 s74, 0
                                        ; implicit-def: $sgpr72
                                        ; implicit-def: $sgpr73
	s_inst_prefetch 0x1
	s_branch .LBB6_161
	.p2align	6
.LBB6_160:                              ;   in Loop: Header=BB6_161 Depth=3
	s_or_b32 exec_lo, exec_lo, s76
	s_and_b32 s75, exec_lo, s77
	s_or_b32 s63, s75, s63
	s_andn2_b32 s72, s72, exec_lo
	s_and_b32 s75, s73, exec_lo
	s_or_b32 s72, s72, s75
	s_andn2_b32 exec_lo, exec_lo, s63
	s_cbranch_execz .LBB6_165
.LBB6_161:                              ;   Parent Loop BB6_47 Depth=1
                                        ;     Parent Loop BB6_57 Depth=2
                                        ; =>    This Inner Loop Header: Depth=3
	s_add_i32 s74, s74, 1
	s_cmpk_lg_i32 s74, 0x2710
	s_cselect_b32 s75, -1, 0
	s_and_b32 vcc_lo, exec_lo, s75
	s_cbranch_vccz .LBB6_163
; %bb.162:                              ;   in Loop: Header=BB6_161 Depth=3
	s_mov_b32 s77, -1
	s_or_b32 s73, s73, exec_lo
	s_and_saveexec_b32 s76, s75
	s_cbranch_execz .LBB6_160
	s_branch .LBB6_164
	.p2align	6
.LBB6_163:                              ;   in Loop: Header=BB6_161 Depth=3
	s_trap 2
	ds_read_b64 v[12:13], v0
	s_andn2_b32 s75, s75, exec_lo
	s_mov_b32 s74, 0
	s_waitcnt lgkmcnt(0)
	flat_load_dword v3, v[12:13] glc dlc
	s_waitcnt vmcnt(0) lgkmcnt(0)
	buffer_gl1_inv
	buffer_gl0_inv
	v_cmp_eq_u32_e32 vcc_lo, 0, v3
	s_and_b32 s76, vcc_lo, exec_lo
	s_or_b32 s75, s75, s76
	s_mov_b32 s77, -1
	s_or_b32 s73, s73, exec_lo
	s_and_saveexec_b32 s76, s75
	s_cbranch_execz .LBB6_160
.LBB6_164:                              ;   in Loop: Header=BB6_161 Depth=3
	s_sleep 1
	s_trap 2
	ds_read_b64 v[12:13], v0
	s_waitcnt lgkmcnt(0)
	buffer_gl0_inv
	s_andn2_b32 s73, s73, exec_lo
	v_cmp_ge_u64_e32 vcc_lo, v[12:13], v[54:55]
	s_orn2_b32 s77, vcc_lo, exec_lo
	s_branch .LBB6_160
.LBB6_165:                              ;   in Loop: Header=BB6_57 Depth=2
	s_inst_prefetch 0x2
	s_or_b32 exec_lo, exec_lo, s63
	s_and_saveexec_b32 s63, s72
	s_xor_b32 s63, exec_lo, s63
	s_cbranch_execz .LBB6_167
; %bb.166:                              ;   in Loop: Header=BB6_57 Depth=2
	ds_write_b32 v0, v41
	s_trap 2
.LBB6_167:                              ;   in Loop: Header=BB6_57 Depth=2
	s_or_b32 exec_lo, exec_lo, s62
	;;#ASMSTART
	s_wakeup
	;;#ASMEND
.LBB6_168:                              ;   in Loop: Header=BB6_57 Depth=2
	s_or_b32 exec_lo, exec_lo, s61
.LBB6_169:                              ;   in Loop: Header=BB6_57 Depth=2
	s_andn2_saveexec_b32 s23, s23
	s_cbranch_execz .LBB6_171
; %bb.170:                              ;   in Loop: Header=BB6_57 Depth=2
	s_waitcnt vmcnt(0) lgkmcnt(0)
	s_waitcnt_vscnt null, 0x0
	buffer_gl1_inv
	buffer_gl0_inv
	s_barrier
.LBB6_171:                              ;   in Loop: Header=BB6_57 Depth=2
	s_or_b32 exec_lo, exec_lo, s23
	s_or_b32 exec_lo, exec_lo, s17
                                        ; implicit-def: $vgpr3
	s_and_saveexec_b32 s17, s13
	s_xor_b32 s17, exec_lo, s17
	s_cbranch_execnz .LBB6_129
.LBB6_172:                              ;   in Loop: Header=BB6_57 Depth=2
	s_andn2_saveexec_b32 s16, s17
	s_cbranch_execz .LBB6_191
.LBB6_173:                              ;   in Loop: Header=BB6_57 Depth=2
	s_and_saveexec_b32 s17, s29
	s_xor_b32 s17, exec_lo, s17
	s_cbranch_execz .LBB6_188
; %bb.174:                              ;   in Loop: Header=BB6_57 Depth=2
	s_and_saveexec_b32 s23, s11
	s_cbranch_execz .LBB6_187
; %bb.175:                              ;   in Loop: Header=BB6_57 Depth=2
	s_mov_b32 s62, exec_lo
	s_mov_b32 s61, exec_lo
	v_mbcnt_lo_u32_b32 v3, s62, 0
	;;#ASMSTART
	s_waitcnt lgkmcnt(0) vmcnt(0)
	;;#ASMEND
	v_cmpx_eq_u32_e32 0, v3
	s_cbranch_execz .LBB6_177
; %bb.176:                              ;   in Loop: Header=BB6_57 Depth=2
	s_bcnt1_i32_b32 s62, s62
	v_mov_b32_e32 v13, v2
	v_mov_b32_e32 v12, s62
	s_waitcnt vmcnt(0) lgkmcnt(0)
	s_waitcnt_vscnt null, 0x0
	ds_add_u64 v0, v[12:13]
	s_trap 2
.LBB6_177:                              ;   in Loop: Header=BB6_57 Depth=2
	s_or_b32 exec_lo, exec_lo, s61
	s_trap 2
	ds_read_b64 v[12:13], v0
	s_waitcnt vmcnt(0) lgkmcnt(0)
	buffer_gl0_inv
	v_add_co_u32 v54, vcc_lo, v54, v119
	v_add_co_ci_u32_e64 v55, null, 0, v55, vcc_lo
	s_mov_b32 s61, exec_lo
	v_cmpx_lt_u64_e64 v[12:13], v[54:55]
	s_cbranch_execz .LBB6_186
; %bb.178:                              ;   in Loop: Header=BB6_57 Depth=2
	s_mov_b32 s62, 0
	s_mov_b32 s73, 0
                                        ; implicit-def: $sgpr63
                                        ; implicit-def: $sgpr72
	s_inst_prefetch 0x1
	s_branch .LBB6_180
	.p2align	6
.LBB6_179:                              ;   in Loop: Header=BB6_180 Depth=3
	s_or_b32 exec_lo, exec_lo, s75
	s_and_b32 s74, exec_lo, s76
	s_or_b32 s62, s74, s62
	s_andn2_b32 s63, s63, exec_lo
	s_and_b32 s74, s72, exec_lo
	s_or_b32 s63, s63, s74
	s_andn2_b32 exec_lo, exec_lo, s62
	s_cbranch_execz .LBB6_184
.LBB6_180:                              ;   Parent Loop BB6_47 Depth=1
                                        ;     Parent Loop BB6_57 Depth=2
                                        ; =>    This Inner Loop Header: Depth=3
	s_add_i32 s73, s73, 1
	s_cmpk_lg_i32 s73, 0x2710
	s_cselect_b32 s74, -1, 0
	s_and_b32 vcc_lo, exec_lo, s74
	s_cbranch_vccz .LBB6_182
; %bb.181:                              ;   in Loop: Header=BB6_180 Depth=3
	s_mov_b32 s76, -1
	s_or_b32 s72, s72, exec_lo
	s_and_saveexec_b32 s75, s74
	s_cbranch_execz .LBB6_179
	s_branch .LBB6_183
	.p2align	6
.LBB6_182:                              ;   in Loop: Header=BB6_180 Depth=3
	s_trap 2
	ds_read_b64 v[12:13], v0
	s_andn2_b32 s74, s74, exec_lo
	s_mov_b32 s73, 0
	s_waitcnt lgkmcnt(0)
	s_waitcnt_vscnt null, 0x0
	flat_load_dword v3, v[12:13] glc dlc
	s_waitcnt vmcnt(0) lgkmcnt(0)
	buffer_gl1_inv
	buffer_gl0_inv
	v_cmp_eq_u32_e32 vcc_lo, 0, v3
	s_and_b32 s75, vcc_lo, exec_lo
	s_or_b32 s74, s74, s75
	s_mov_b32 s76, -1
	s_or_b32 s72, s72, exec_lo
	s_and_saveexec_b32 s75, s74
	s_cbranch_execz .LBB6_179
.LBB6_183:                              ;   in Loop: Header=BB6_180 Depth=3
	s_sleep 1
	s_trap 2
	ds_read_b64 v[12:13], v0
	s_waitcnt lgkmcnt(0)
	buffer_gl0_inv
	s_andn2_b32 s72, s72, exec_lo
	v_cmp_ge_u64_e32 vcc_lo, v[12:13], v[54:55]
	s_orn2_b32 s76, vcc_lo, exec_lo
	s_branch .LBB6_179
.LBB6_184:                              ;   in Loop: Header=BB6_57 Depth=2
	s_inst_prefetch 0x2
	s_or_b32 exec_lo, exec_lo, s62
	s_and_saveexec_b32 s62, s63
	s_xor_b32 s62, exec_lo, s62
	s_cbranch_execz .LBB6_186
; %bb.185:                              ;   in Loop: Header=BB6_57 Depth=2
	ds_write_b32 v0, v41
	s_trap 2
.LBB6_186:                              ;   in Loop: Header=BB6_57 Depth=2
	s_or_b32 exec_lo, exec_lo, s61
	;;#ASMSTART
	s_wakeup
	;;#ASMEND
.LBB6_187:                              ;   in Loop: Header=BB6_57 Depth=2
	s_or_b32 exec_lo, exec_lo, s23
.LBB6_188:                              ;   in Loop: Header=BB6_57 Depth=2
	s_andn2_saveexec_b32 s17, s17
	s_cbranch_execz .LBB6_190
; %bb.189:                              ;   in Loop: Header=BB6_57 Depth=2
	;;#ASMSTART
	s_waitcnt lgkmcnt(0) vmcnt(0)
	;;#ASMEND
	s_barrier
.LBB6_190:                              ;   in Loop: Header=BB6_57 Depth=2
	s_or_b32 exec_lo, exec_lo, s17
	v_and_b32_e32 v3, 16, v116
.LBB6_191:                              ;   in Loop: Header=BB6_57 Depth=2
	s_or_b32 exec_lo, exec_lo, s16
	s_mov_b32 s16, exec_lo
	v_cmpx_ne_u32_e32 0, v3
	s_cbranch_execz .LBB6_56
; %bb.192:                              ;   in Loop: Header=BB6_57 Depth=2
	s_and_saveexec_b32 s17, s10
	s_cbranch_execz .LBB6_55
; %bb.193:                              ;   in Loop: Header=BB6_57 Depth=2
	s_waitcnt vmcnt(0) lgkmcnt(0)
	s_waitcnt_vscnt null, 0x0
	flat_store_dword v[52:53], v41
	s_branch .LBB6_55
.LBB6_194:                              ;   in Loop: Header=BB6_47 Depth=1
	s_or_b32 exec_lo, exec_lo, s19
.LBB6_195:                              ;   in Loop: Header=BB6_47 Depth=1
	s_or_b32 exec_lo, exec_lo, s18
	s_mov_b32 s17, exec_lo
	v_cmpx_gt_i32_e32 2, v3
	s_cbranch_execz .LBB6_267
; %bb.196:                              ;   in Loop: Header=BB6_47 Depth=1
	v_cmp_eq_u32_e64 s19, 0, v3
	s_mov_b32 s18, 0
	s_branch .LBB6_199
.LBB6_197:                              ;   in Loop: Header=BB6_199 Depth=2
	s_or_b32 exec_lo, exec_lo, s19
	v_add_co_u32 v80, vcc_lo, v80, 2
	v_add_co_ci_u32_e64 v81, null, 0, v81, vcc_lo
	s_waitcnt vmcnt(0) lgkmcnt(0)
	s_waitcnt_vscnt null, 0x0
	flat_store_dwordx2 v[48:49], v[80:81]
.LBB6_198:                              ;   in Loop: Header=BB6_199 Depth=2
	s_or_b32 exec_lo, exec_lo, s16
	v_add_nc_u32_e32 v21, v8, v21
	s_mov_b32 s19, 0
	s_andn2_b32 exec_lo, exec_lo, s18
	s_cbranch_execz .LBB6_266
.LBB6_199:                              ;   Parent Loop BB6_47 Depth=1
                                        ; =>  This Loop Header: Depth=2
                                        ;       Child Loop BB6_205 Depth 3
                                        ;       Child Loop BB6_229 Depth 3
	;; [unrolled: 1-line block ×3, first 2 shown]
	v_sub_nc_u32_e32 v3, v20, v21
	v_and_b32_e32 v9, 8, v116
	s_mov_b32 s21, exec_lo
	v_min_i32_e32 v8, v8, v3
	v_cmpx_ne_u32_e32 0, v9
	s_cbranch_execz .LBB6_221
; %bb.200:                              ;   in Loop: Header=BB6_199 Depth=2
	s_waitcnt vmcnt(0) lgkmcnt(1)
	v_add_co_u32 v12, vcc_lo, v64, 8
	v_add_co_ci_u32_e64 v13, null, 0, v65, vcc_lo
	v_add_co_u32 v10, vcc_lo, v80, 2
	v_add_co_ci_u32_e64 v11, null, 0, v81, vcc_lo
	s_mov_b32 s22, exec_lo
	v_cmpx_lt_u64_e64 v[12:13], v[10:11]
	s_cbranch_execz .LBB6_212
; %bb.201:                              ;   in Loop: Header=BB6_199 Depth=2
	v_and_b32_e32 v3, 64, v116
	s_mov_b32 s23, 0
	s_mov_b32 s72, 0
                                        ; implicit-def: $sgpr61
                                        ; implicit-def: $sgpr62
                                        ; implicit-def: $sgpr63
	v_cmp_eq_u32_e32 vcc_lo, 0, v3
	s_branch .LBB6_205
.LBB6_202:                              ;   in Loop: Header=BB6_205 Depth=3
	s_waitcnt vmcnt(0) lgkmcnt(0)
	v_add_co_u32 v12, s16, v64, 8
	v_add_co_ci_u32_e64 v13, null, 0, v65, s16
	s_or_b32 s75, s75, exec_lo
	v_cmp_ge_u64_e64 s16, v[12:13], v[10:11]
	s_orn2_b32 s74, s16, exec_lo
.LBB6_203:                              ;   in Loop: Header=BB6_205 Depth=3
	s_or_b32 exec_lo, exec_lo, s77
	s_andn2_b32 s16, s63, exec_lo
	s_and_b32 s63, s75, exec_lo
	s_andn2_b32 s62, s62, exec_lo
	s_and_b32 s74, s74, exec_lo
	s_or_b32 s63, s16, s63
	s_or_b32 s62, s62, s74
.LBB6_204:                              ;   in Loop: Header=BB6_205 Depth=3
	s_or_b32 exec_lo, exec_lo, s73
	s_and_b32 s16, exec_lo, s62
	s_or_b32 s23, s16, s23
	s_andn2_b32 s16, s61, exec_lo
	s_and_b32 s61, s63, exec_lo
	s_or_b32 s61, s16, s61
	s_andn2_b32 exec_lo, exec_lo, s23
	s_cbranch_execz .LBB6_209
.LBB6_205:                              ;   Parent Loop BB6_47 Depth=1
                                        ;     Parent Loop BB6_199 Depth=2
                                        ; =>    This Inner Loop Header: Depth=3
	s_sleep 1
	s_waitcnt vmcnt(0) lgkmcnt(0)
	flat_load_dwordx2 v[64:65], v[48:49] glc dlc
	s_or_b32 s63, s63, exec_lo
	s_or_b32 s62, s62, exec_lo
                                        ; implicit-def: $vgpr3
	s_and_saveexec_b32 s73, vcc_lo
	s_cbranch_execz .LBB6_204
; %bb.206:                              ;   in Loop: Header=BB6_205 Depth=3
	s_cmpk_lt_i32 s72, 0x270f
	s_mov_b32 s74, -1
	s_cselect_b32 s76, -1, 0
	s_cmpk_gt_i32 s72, 0x270e
	s_cbranch_scc0 .LBB6_208
; %bb.207:                              ;   in Loop: Header=BB6_205 Depth=3
	s_trap 2
	ds_read_b64 v[12:13], v0
	s_andn2_b32 s72, s76, exec_lo
	s_mov_b32 s75, 0
	s_waitcnt vmcnt(0) lgkmcnt(0)
	s_waitcnt_vscnt null, 0x0
	flat_load_dword v3, v[12:13] glc dlc
	s_waitcnt vmcnt(0) lgkmcnt(0)
	buffer_gl1_inv
	buffer_gl0_inv
	v_cmp_eq_u32_e64 s16, 0, v3
	s_and_b32 s16, s16, exec_lo
	s_or_b32 s76, s72, s16
	s_mov_b32 s72, 0
	s_and_saveexec_b32 s77, s76
	s_cbranch_execz .LBB6_203
	s_branch .LBB6_202
.LBB6_208:                              ;   in Loop: Header=BB6_205 Depth=3
	s_add_i32 s72, s72, 1
	s_mov_b32 s75, -1
                                        ; implicit-def: $vgpr3
	s_and_saveexec_b32 s77, s76
	s_cbranch_execz .LBB6_203
	s_branch .LBB6_202
.LBB6_209:                              ;   in Loop: Header=BB6_199 Depth=2
	s_or_b32 exec_lo, exec_lo, s23
	s_xor_b32 s16, s61, -1
	s_and_saveexec_b32 s23, s16
	s_xor_b32 s16, exec_lo, s23
	s_cbranch_execz .LBB6_211
; %bb.210:                              ;   in Loop: Header=BB6_199 Depth=2
	v_or_b32_e32 v116, 64, v116
	s_waitcnt vmcnt(0) lgkmcnt(0)
	s_waitcnt_vscnt null, 0x0
	ds_write_b32 v0, v3
	s_trap 2
.LBB6_211:                              ;   in Loop: Header=BB6_199 Depth=2
	s_or_b32 exec_lo, exec_lo, s16
.LBB6_212:                              ;   in Loop: Header=BB6_199 Depth=2
	s_or_b32 exec_lo, exec_lo, s22
	v_and_b32_e32 v3, 0x100, v116
	s_mov_b32 s16, -1
	;;#ASMSTART
	s_wakeup
	;;#ASMEND
                                        ; implicit-def: $vgpr12_vgpr13
	v_cmp_ne_u32_e32 vcc_lo, 0, v3
	v_and_b32_e32 v3, 7, v80
	s_and_saveexec_b32 s22, vcc_lo
	s_cbranch_execz .LBB6_216
; %bb.213:                              ;   in Loop: Header=BB6_199 Depth=2
	v_mad_u64_u32 v[14:15], null, v3, 24, v[6:7]
	v_ashrrev_i32_e32 v9, 31, v8
	flat_load_dword v12, v[14:15]
	flat_store_dwordx2 v[14:15], v[8:9] offset:8
	s_waitcnt vmcnt(0) lgkmcnt(1)
	v_cmp_eq_u32_e64 s16, 1, v12
	v_cmp_ne_u32_e32 vcc_lo, 1, v12
                                        ; implicit-def: $vgpr12_vgpr13
	s_and_saveexec_b32 s23, s16
	s_cbranch_execz .LBB6_215
; %bb.214:                              ;   in Loop: Header=BB6_199 Depth=2
	flat_load_dword v12, v[14:15] offset:4 glc dlc
	s_waitcnt vmcnt(0) lgkmcnt(0)
	v_ashrrev_i32_e32 v13, 31, v12
.LBB6_215:                              ;   in Loop: Header=BB6_199 Depth=2
	s_or_b32 exec_lo, exec_lo, s23
	s_orn2_b32 s16, vcc_lo, exec_lo
.LBB6_216:                              ;   in Loop: Header=BB6_199 Depth=2
	s_or_b32 exec_lo, exec_lo, s22
	s_and_saveexec_b32 s22, s16
; %bb.217:                              ;   in Loop: Header=BB6_199 Depth=2
	v_mad_i64_i32 v[12:13], null, v3, v117, 0
; %bb.218:                              ;   in Loop: Header=BB6_199 Depth=2
	s_or_b32 exec_lo, exec_lo, s22
	v_add_co_u32 v12, vcc_lo, v50, v12
	v_and_b32_e32 v3, 0x2000, v116
	v_add_co_ci_u32_e64 v13, null, v51, v13, vcc_lo
	s_mov_b32 s16, exec_lo
	ds_write_b64 v0, v[12:13] offset:784
	v_cmpx_ne_u32_e32 0, v3
	s_cbranch_execz .LBB6_220
; %bb.219:                              ;   in Loop: Header=BB6_199 Depth=2
	ds_read_b64 v[12:13], v0 offset:872
	s_waitcnt lgkmcnt(0)
	v_add_co_u32 v12, vcc_lo, v12, 1
	v_add_co_ci_u32_e64 v13, null, 0, v13, vcc_lo
	ds_write_b64 v0, v[12:13] offset:872
.LBB6_220:                              ;   in Loop: Header=BB6_199 Depth=2
	s_or_b32 exec_lo, exec_lo, s16
	v_mov_b32_e32 v81, v11
	v_mov_b32_e32 v80, v10
.LBB6_221:                              ;   in Loop: Header=BB6_199 Depth=2
	s_or_b32 exec_lo, exec_lo, s21
	s_xor_b32 s16, s19, -1
	s_and_b32 s16, exec_lo, s16
	s_or_b32 s18, s16, s18
	s_and_saveexec_b32 s16, s6
	s_cbranch_execz .LBB6_240
; %bb.222:                              ;   in Loop: Header=BB6_199 Depth=2
	s_and_saveexec_b32 s19, s29
	s_xor_b32 s19, exec_lo, s19
	s_cbranch_execz .LBB6_237
; %bb.223:                              ;   in Loop: Header=BB6_199 Depth=2
	s_and_saveexec_b32 s21, s11
	s_cbranch_execz .LBB6_236
; %bb.224:                              ;   in Loop: Header=BB6_199 Depth=2
	s_mov_b32 s23, exec_lo
	s_mov_b32 s22, exec_lo
	v_mbcnt_lo_u32_b32 v3, s23, 0
	s_waitcnt vmcnt(0) lgkmcnt(0)
	s_waitcnt_vscnt null, 0x0
	buffer_gl1_inv
	buffer_gl0_inv
	v_cmpx_eq_u32_e32 0, v3
	s_cbranch_execz .LBB6_226
; %bb.225:                              ;   in Loop: Header=BB6_199 Depth=2
	s_bcnt1_i32_b32 s23, s23
	v_mov_b32_e32 v10, v2
	v_mov_b32_e32 v9, s23
	ds_add_u64 v0, v[9:10]
	s_trap 2
.LBB6_226:                              ;   in Loop: Header=BB6_199 Depth=2
	s_or_b32 exec_lo, exec_lo, s22
	s_trap 2
	ds_read_b64 v[9:10], v0
	s_waitcnt lgkmcnt(0)
	buffer_gl0_inv
	v_add_co_u32 v54, vcc_lo, v54, v119
	v_add_co_ci_u32_e64 v55, null, 0, v55, vcc_lo
	s_mov_b32 s22, exec_lo
	v_cmpx_lt_u64_e64 v[9:10], v[54:55]
	s_cbranch_execz .LBB6_235
; %bb.227:                              ;   in Loop: Header=BB6_199 Depth=2
	s_mov_b32 s23, 0
	s_mov_b32 s63, 0
                                        ; implicit-def: $sgpr61
                                        ; implicit-def: $sgpr62
	s_inst_prefetch 0x1
	s_branch .LBB6_229
	.p2align	6
.LBB6_228:                              ;   in Loop: Header=BB6_229 Depth=3
	s_or_b32 exec_lo, exec_lo, s73
	s_and_b32 s72, exec_lo, s74
	s_or_b32 s23, s72, s23
	s_andn2_b32 s61, s61, exec_lo
	s_and_b32 s72, s62, exec_lo
	s_or_b32 s61, s61, s72
	s_andn2_b32 exec_lo, exec_lo, s23
	s_cbranch_execz .LBB6_233
.LBB6_229:                              ;   Parent Loop BB6_47 Depth=1
                                        ;     Parent Loop BB6_199 Depth=2
                                        ; =>    This Inner Loop Header: Depth=3
	s_add_i32 s63, s63, 1
	s_cmpk_lg_i32 s63, 0x2710
	s_cselect_b32 s72, -1, 0
	s_and_b32 vcc_lo, exec_lo, s72
	s_cbranch_vccz .LBB6_231
; %bb.230:                              ;   in Loop: Header=BB6_229 Depth=3
	s_mov_b32 s74, -1
	s_or_b32 s62, s62, exec_lo
	s_and_saveexec_b32 s73, s72
	s_cbranch_execz .LBB6_228
	s_branch .LBB6_232
	.p2align	6
.LBB6_231:                              ;   in Loop: Header=BB6_229 Depth=3
	s_trap 2
	ds_read_b64 v[9:10], v0
	s_andn2_b32 s72, s72, exec_lo
	s_mov_b32 s63, 0
	s_waitcnt lgkmcnt(0)
	flat_load_dword v3, v[9:10] glc dlc
	s_waitcnt vmcnt(0) lgkmcnt(0)
	buffer_gl1_inv
	buffer_gl0_inv
	v_cmp_eq_u32_e32 vcc_lo, 0, v3
	s_and_b32 s73, vcc_lo, exec_lo
	s_or_b32 s72, s72, s73
	s_mov_b32 s74, -1
	s_or_b32 s62, s62, exec_lo
	s_and_saveexec_b32 s73, s72
	s_cbranch_execz .LBB6_228
.LBB6_232:                              ;   in Loop: Header=BB6_229 Depth=3
	s_sleep 1
	s_trap 2
	ds_read_b64 v[9:10], v0
	s_waitcnt lgkmcnt(0)
	buffer_gl0_inv
	s_andn2_b32 s62, s62, exec_lo
	v_cmp_ge_u64_e32 vcc_lo, v[9:10], v[54:55]
	s_orn2_b32 s74, vcc_lo, exec_lo
	s_branch .LBB6_228
.LBB6_233:                              ;   in Loop: Header=BB6_199 Depth=2
	s_inst_prefetch 0x2
	s_or_b32 exec_lo, exec_lo, s23
	s_and_saveexec_b32 s23, s61
	s_xor_b32 s23, exec_lo, s23
	s_cbranch_execz .LBB6_235
; %bb.234:                              ;   in Loop: Header=BB6_199 Depth=2
	ds_write_b32 v0, v41
	s_trap 2
.LBB6_235:                              ;   in Loop: Header=BB6_199 Depth=2
	s_or_b32 exec_lo, exec_lo, s22
	;;#ASMSTART
	s_wakeup
	;;#ASMEND
.LBB6_236:                              ;   in Loop: Header=BB6_199 Depth=2
	s_or_b32 exec_lo, exec_lo, s21
.LBB6_237:                              ;   in Loop: Header=BB6_199 Depth=2
	s_andn2_saveexec_b32 s19, s19
	s_cbranch_execz .LBB6_239
; %bb.238:                              ;   in Loop: Header=BB6_199 Depth=2
	s_waitcnt vmcnt(0) lgkmcnt(0)
	s_waitcnt_vscnt null, 0x0
	buffer_gl1_inv
	buffer_gl0_inv
	s_barrier
.LBB6_239:                              ;   in Loop: Header=BB6_199 Depth=2
	s_or_b32 exec_lo, exec_lo, s19
.LBB6_240:                              ;   in Loop: Header=BB6_199 Depth=2
	s_or_b32 exec_lo, exec_lo, s16
                                        ; implicit-def: $vgpr3
	s_and_saveexec_b32 s16, s13
	s_xor_b32 s19, exec_lo, s16
	s_cbranch_execz .LBB6_244
; %bb.241:                              ;   in Loop: Header=BB6_199 Depth=2
	s_trap 2
	ds_read_b32 v3, v0
	v_cmp_lt_i32_e32 vcc_lo, 0, v8
	s_waitcnt lgkmcnt(0)
	v_readfirstlane_b32 s16, v3
	v_and_b32_e32 v3, 16, v116
	s_cmp_eq_u32 s16, 0
	v_cmp_ne_u32_e64 s16, 0, v3
	s_cselect_b32 s21, -1, 0
	v_and_b32_e32 v3, 16, v116
	s_and_b32 s21, vcc_lo, s21
	s_and_b32 s21, s16, s21
	s_and_saveexec_b32 s16, s21
	s_cbranch_execz .LBB6_243
; %bb.242:                              ;   in Loop: Header=BB6_199 Depth=2
	v_mov_b32_e32 v3, 1
	s_waitcnt vmcnt(0)
	s_waitcnt_vscnt null, 0x0
	buffer_gl1_inv
	buffer_gl0_inv
.LBB6_243:                              ;   in Loop: Header=BB6_199 Depth=2
	s_or_b32 exec_lo, exec_lo, s16
	s_andn2_saveexec_b32 s16, s19
	s_cbranch_execz .LBB6_263
	s_branch .LBB6_245
.LBB6_244:                              ;   in Loop: Header=BB6_199 Depth=2
	s_andn2_saveexec_b32 s16, s19
	s_cbranch_execz .LBB6_263
.LBB6_245:                              ;   in Loop: Header=BB6_199 Depth=2
	s_and_saveexec_b32 s19, s29
	s_xor_b32 s19, exec_lo, s19
	s_cbranch_execz .LBB6_260
; %bb.246:                              ;   in Loop: Header=BB6_199 Depth=2
	s_and_saveexec_b32 s21, s11
	s_cbranch_execz .LBB6_259
; %bb.247:                              ;   in Loop: Header=BB6_199 Depth=2
	s_mov_b32 s23, exec_lo
	s_mov_b32 s22, exec_lo
	v_mbcnt_lo_u32_b32 v3, s23, 0
	;;#ASMSTART
	s_waitcnt lgkmcnt(0) vmcnt(0)
	;;#ASMEND
	v_cmpx_eq_u32_e32 0, v3
	s_cbranch_execz .LBB6_249
; %bb.248:                              ;   in Loop: Header=BB6_199 Depth=2
	s_bcnt1_i32_b32 s23, s23
	v_mov_b32_e32 v10, v2
	v_mov_b32_e32 v9, s23
	s_waitcnt vmcnt(0) lgkmcnt(0)
	s_waitcnt_vscnt null, 0x0
	ds_add_u64 v0, v[9:10]
	s_trap 2
.LBB6_249:                              ;   in Loop: Header=BB6_199 Depth=2
	s_or_b32 exec_lo, exec_lo, s22
	s_trap 2
	ds_read_b64 v[9:10], v0
	s_waitcnt vmcnt(0) lgkmcnt(0)
	buffer_gl0_inv
	v_add_co_u32 v54, vcc_lo, v54, v119
	v_add_co_ci_u32_e64 v55, null, 0, v55, vcc_lo
	s_mov_b32 s22, exec_lo
	v_cmpx_lt_u64_e64 v[9:10], v[54:55]
	s_cbranch_execz .LBB6_258
; %bb.250:                              ;   in Loop: Header=BB6_199 Depth=2
	s_mov_b32 s23, 0
	s_mov_b32 s63, 0
                                        ; implicit-def: $sgpr61
                                        ; implicit-def: $sgpr62
	s_inst_prefetch 0x1
	s_branch .LBB6_252
	.p2align	6
.LBB6_251:                              ;   in Loop: Header=BB6_252 Depth=3
	s_or_b32 exec_lo, exec_lo, s73
	s_and_b32 s72, exec_lo, s74
	s_or_b32 s23, s72, s23
	s_andn2_b32 s61, s61, exec_lo
	s_and_b32 s72, s62, exec_lo
	s_or_b32 s61, s61, s72
	s_andn2_b32 exec_lo, exec_lo, s23
	s_cbranch_execz .LBB6_256
.LBB6_252:                              ;   Parent Loop BB6_47 Depth=1
                                        ;     Parent Loop BB6_199 Depth=2
                                        ; =>    This Inner Loop Header: Depth=3
	s_add_i32 s63, s63, 1
	s_cmpk_lg_i32 s63, 0x2710
	s_cselect_b32 s72, -1, 0
	s_and_b32 vcc_lo, exec_lo, s72
	s_cbranch_vccz .LBB6_254
; %bb.253:                              ;   in Loop: Header=BB6_252 Depth=3
	s_mov_b32 s74, -1
	s_or_b32 s62, s62, exec_lo
	s_and_saveexec_b32 s73, s72
	s_cbranch_execz .LBB6_251
	s_branch .LBB6_255
	.p2align	6
.LBB6_254:                              ;   in Loop: Header=BB6_252 Depth=3
	s_trap 2
	ds_read_b64 v[9:10], v0
	s_andn2_b32 s72, s72, exec_lo
	s_mov_b32 s63, 0
	s_waitcnt lgkmcnt(0)
	s_waitcnt_vscnt null, 0x0
	flat_load_dword v3, v[9:10] glc dlc
	s_waitcnt vmcnt(0) lgkmcnt(0)
	buffer_gl1_inv
	buffer_gl0_inv
	v_cmp_eq_u32_e32 vcc_lo, 0, v3
	s_and_b32 s73, vcc_lo, exec_lo
	s_or_b32 s72, s72, s73
	s_mov_b32 s74, -1
	s_or_b32 s62, s62, exec_lo
	s_and_saveexec_b32 s73, s72
	s_cbranch_execz .LBB6_251
.LBB6_255:                              ;   in Loop: Header=BB6_252 Depth=3
	s_sleep 1
	s_trap 2
	ds_read_b64 v[9:10], v0
	s_waitcnt lgkmcnt(0)
	buffer_gl0_inv
	s_andn2_b32 s62, s62, exec_lo
	v_cmp_ge_u64_e32 vcc_lo, v[9:10], v[54:55]
	s_orn2_b32 s74, vcc_lo, exec_lo
	s_branch .LBB6_251
.LBB6_256:                              ;   in Loop: Header=BB6_199 Depth=2
	s_inst_prefetch 0x2
	s_or_b32 exec_lo, exec_lo, s23
	s_and_saveexec_b32 s23, s61
	s_xor_b32 s23, exec_lo, s23
	s_cbranch_execz .LBB6_258
; %bb.257:                              ;   in Loop: Header=BB6_199 Depth=2
	ds_write_b32 v0, v41
	s_trap 2
.LBB6_258:                              ;   in Loop: Header=BB6_199 Depth=2
	s_or_b32 exec_lo, exec_lo, s22
	;;#ASMSTART
	s_wakeup
	;;#ASMEND
.LBB6_259:                              ;   in Loop: Header=BB6_199 Depth=2
	s_or_b32 exec_lo, exec_lo, s21
.LBB6_260:                              ;   in Loop: Header=BB6_199 Depth=2
	s_andn2_saveexec_b32 s19, s19
	s_cbranch_execz .LBB6_262
; %bb.261:                              ;   in Loop: Header=BB6_199 Depth=2
	;;#ASMSTART
	s_waitcnt lgkmcnt(0) vmcnt(0)
	;;#ASMEND
	s_barrier
.LBB6_262:                              ;   in Loop: Header=BB6_199 Depth=2
	s_or_b32 exec_lo, exec_lo, s19
	v_and_b32_e32 v3, 16, v116
.LBB6_263:                              ;   in Loop: Header=BB6_199 Depth=2
	s_or_b32 exec_lo, exec_lo, s16
	s_mov_b32 s16, exec_lo
	v_cmpx_ne_u32_e32 0, v3
	s_cbranch_execz .LBB6_198
; %bb.264:                              ;   in Loop: Header=BB6_199 Depth=2
	s_and_saveexec_b32 s19, s10
	s_cbranch_execz .LBB6_197
; %bb.265:                              ;   in Loop: Header=BB6_199 Depth=2
	s_waitcnt vmcnt(0) lgkmcnt(0)
	s_waitcnt_vscnt null, 0x0
	flat_store_dword v[52:53], v41
	s_branch .LBB6_197
.LBB6_266:                              ;   in Loop: Header=BB6_47 Depth=1
	s_or_b32 exec_lo, exec_lo, s18
.LBB6_267:                              ;   in Loop: Header=BB6_47 Depth=1
	s_or_b32 exec_lo, exec_lo, s17
	s_andn2_b32 vcc_lo, exec_lo, s46
	s_cbranch_vccnz .LBB6_493
; %bb.268:                              ;   in Loop: Header=BB6_47 Depth=1
	s_mov_b32 s18, 2
	s_branch .LBB6_271
.LBB6_269:                              ;   in Loop: Header=BB6_271 Depth=2
	s_or_b32 exec_lo, exec_lo, s19
.LBB6_270:                              ;   in Loop: Header=BB6_271 Depth=2
	s_or_b32 exec_lo, exec_lo, s17
	s_add_i32 s18, s18, 1
	s_cmp_eq_u32 s18, s25
	s_cbranch_scc1 .LBB6_492
.LBB6_271:                              ;   Parent Loop BB6_47 Depth=1
                                        ; =>  This Loop Header: Depth=2
                                        ;       Child Loop BB6_274 Depth 3
                                        ;         Child Loop BB6_282 Depth 4
                                        ;         Child Loop BB6_310 Depth 4
	;; [unrolled: 1-line block ×9, first 2 shown]
                                        ;       Child Loop BB6_420 Depth 3
                                        ;         Child Loop BB6_426 Depth 4
                                        ;         Child Loop BB6_454 Depth 4
	;; [unrolled: 1-line block ×3, first 2 shown]
	s_clause 0x3
	buffer_load_dword v4, off, s[0:3], s33 offset:200
	buffer_load_dword v5, off, s[0:3], s33 offset:204
	;; [unrolled: 1-line block ×4, first 2 shown]
	s_sub_i32 s16, s42, s18
	s_waitcnt vmcnt(4)
	v_mov_b32_e32 v115, 0
	s_cmp_ge_i32 s16, s25
	s_mov_b32 s21, 0
	s_cselect_b32 s17, s25, 0
	s_sub_i32 s16, s16, s17
	s_ashr_i32 s17, s16, 31
	s_waitcnt vmcnt(3)
	v_mad_u64_u32 v[86:87], null, v4, s16, 0
	s_waitcnt vmcnt(2)
	v_mul_lo_u32 v1, v5, s16
	v_mul_lo_u32 v3, v4, s17
	s_waitcnt vmcnt(1)
	v_sub_co_u32 v8, vcc_lo, v8, v86
	v_add3_u32 v87, v87, v3, v1
	s_waitcnt vmcnt(0)
	v_sub_co_ci_u32_e64 v9, null, v9, v87, vcc_lo
	v_cmp_lt_i64_e32 vcc_lo, v[4:5], v[8:9]
	v_cndmask_b32_e32 v1, v8, v4, vcc_lo
	v_max_i32_e32 v114, 0, v1
	v_cmp_lt_i32_e32 vcc_lo, 0, v1
	v_add_nc_u32_e32 v3, 31, v114
	s_and_b32 s16, s57, vcc_lo
	v_lshrrev_b32_e32 v3, 1, v3
	v_and_b32_e32 v4, 0x3ffffff0, v3
	v_mov_b32_e32 v3, 0
	v_max_i32_e32 v84, s45, v4
	s_and_saveexec_b32 s19, s16
	s_cbranch_execz .LBB6_417
; %bb.272:                              ;   in Loop: Header=BB6_271 Depth=2
	v_mov_b32_e32 v115, 0
	s_mov_b32 s23, 1
	s_mov_b32 s22, -1
	s_branch .LBB6_274
.LBB6_273:                              ;   in Loop: Header=BB6_274 Depth=3
	s_or_b32 exec_lo, exec_lo, s16
	v_add_nc_u32_e32 v115, v84, v115
	s_xor_b32 s16, s22, -1
	v_mov_b32_e32 v3, s23
	s_mov_b32 s22, 0
	s_mov_b32 s23, 2
	v_cmp_ge_i32_e32 vcc_lo, v115, v114
	s_or_b32 s16, s16, vcc_lo
	s_and_b32 s16, exec_lo, s16
	s_or_b32 s21, s16, s21
	s_andn2_b32 exec_lo, exec_lo, s21
	s_cbranch_execz .LBB6_416
.LBB6_274:                              ;   Parent Loop BB6_47 Depth=1
                                        ;     Parent Loop BB6_271 Depth=2
                                        ; =>    This Loop Header: Depth=3
                                        ;         Child Loop BB6_282 Depth 4
                                        ;         Child Loop BB6_310 Depth 4
	;; [unrolled: 1-line block ×9, first 2 shown]
	s_and_saveexec_b32 s16, s4
	s_cbranch_execz .LBB6_276
; %bb.275:                              ;   in Loop: Header=BB6_274 Depth=3
	s_trap 2
	ds_read_b64 v[8:9], v0
	v_ashrrev_i32_e32 v4, 31, v115
	s_waitcnt lgkmcnt(0)
	v_add_co_u32 v1, vcc_lo, v8, v88
	v_add_co_ci_u32_e64 v3, null, v9, v58, vcc_lo
	v_add_co_u32 v1, vcc_lo, v1, v86
	v_add_co_ci_u32_e64 v3, null, v3, v87, vcc_lo
	;; [unrolled: 2-line block ×3, first 2 shown]
	v_mov_b32_e32 v3, v2
	ds_write_b64 v0, v[8:9]
	ds_write_b64 v0, v[2:3]
.LBB6_276:                              ;   in Loop: Header=BB6_274 Depth=3
	s_or_b32 exec_lo, exec_lo, s16
	v_sub_nc_u32_e32 v1, v114, v115
	v_and_b32_e32 v3, 12, v116
	s_mov_b32 s17, exec_lo
	v_min_i32_e32 v84, v84, v1
	v_cmpx_ne_u32_e32 0, v3
	s_cbranch_execz .LBB6_302
; %bb.277:                              ;   in Loop: Header=BB6_274 Depth=3
	v_and_b32_e32 v3, 8, v116
	s_mov_b32 s61, exec_lo
	s_waitcnt vmcnt(0) lgkmcnt(1)
	v_add_co_u32 v10, vcc_lo, v64, v3
	v_add_co_ci_u32_e64 v11, null, 0, v65, vcc_lo
	v_add_co_u32 v8, vcc_lo, v80, 2
	v_add_co_ci_u32_e64 v9, null, 0, v81, vcc_lo
	v_cmpx_lt_u64_e64 v[10:11], v[8:9]
	s_cbranch_execz .LBB6_289
; %bb.278:                              ;   in Loop: Header=BB6_274 Depth=3
	v_and_b32_e32 v1, 64, v116
	s_mov_b32 s62, 0
	s_mov_b32 s74, 0
                                        ; implicit-def: $sgpr63
                                        ; implicit-def: $sgpr72
                                        ; implicit-def: $sgpr73
	v_cmp_eq_u32_e32 vcc_lo, 0, v1
	s_branch .LBB6_282
.LBB6_279:                              ;   in Loop: Header=BB6_282 Depth=4
	s_waitcnt vmcnt(0) lgkmcnt(0)
	v_add_co_u32 v11, s16, v64, v3
	v_add_co_ci_u32_e64 v12, null, 0, v65, s16
	s_or_b32 s77, s77, exec_lo
	v_cmp_ge_u64_e64 s16, v[11:12], v[8:9]
	s_orn2_b32 s76, s16, exec_lo
.LBB6_280:                              ;   in Loop: Header=BB6_282 Depth=4
	s_or_b32 exec_lo, exec_lo, s79
	s_andn2_b32 s16, s73, exec_lo
	s_and_b32 s73, s77, exec_lo
	s_andn2_b32 s72, s72, exec_lo
	s_and_b32 s76, s76, exec_lo
	s_or_b32 s73, s16, s73
	s_or_b32 s72, s72, s76
.LBB6_281:                              ;   in Loop: Header=BB6_282 Depth=4
	s_or_b32 exec_lo, exec_lo, s75
	s_and_b32 s16, exec_lo, s72
	s_or_b32 s62, s16, s62
	s_andn2_b32 s16, s63, exec_lo
	s_and_b32 s63, s73, exec_lo
	s_or_b32 s63, s16, s63
	s_andn2_b32 exec_lo, exec_lo, s62
	s_cbranch_execz .LBB6_286
.LBB6_282:                              ;   Parent Loop BB6_47 Depth=1
                                        ;     Parent Loop BB6_271 Depth=2
                                        ;       Parent Loop BB6_274 Depth=3
                                        ; =>      This Inner Loop Header: Depth=4
	s_sleep 1
	s_waitcnt vmcnt(0) lgkmcnt(0)
	flat_load_dwordx2 v[64:65], v[48:49] glc dlc
	s_or_b32 s73, s73, exec_lo
	s_or_b32 s72, s72, exec_lo
                                        ; implicit-def: $vgpr10
	s_and_saveexec_b32 s75, vcc_lo
	s_cbranch_execz .LBB6_281
; %bb.283:                              ;   in Loop: Header=BB6_282 Depth=4
	s_cmpk_lt_i32 s74, 0x270f
	s_mov_b32 s76, -1
	s_cselect_b32 s78, -1, 0
	s_cmpk_gt_i32 s74, 0x270e
	s_cbranch_scc0 .LBB6_285
; %bb.284:                              ;   in Loop: Header=BB6_282 Depth=4
	s_trap 2
	ds_read_b64 v[10:11], v0
	s_andn2_b32 s74, s78, exec_lo
	s_mov_b32 s77, 0
	s_waitcnt vmcnt(0) lgkmcnt(0)
	s_waitcnt_vscnt null, 0x0
	flat_load_dword v10, v[10:11] glc dlc
	s_waitcnt vmcnt(0) lgkmcnt(0)
	buffer_gl1_inv
	buffer_gl0_inv
	v_cmp_eq_u32_e64 s16, 0, v10
	s_and_b32 s16, s16, exec_lo
	s_or_b32 s78, s74, s16
	s_mov_b32 s74, 0
	s_and_saveexec_b32 s79, s78
	s_cbranch_execz .LBB6_280
	s_branch .LBB6_279
.LBB6_285:                              ;   in Loop: Header=BB6_282 Depth=4
	s_add_i32 s74, s74, 1
	s_mov_b32 s77, -1
                                        ; implicit-def: $vgpr10
	s_and_saveexec_b32 s79, s78
	s_cbranch_execz .LBB6_280
	s_branch .LBB6_279
.LBB6_286:                              ;   in Loop: Header=BB6_274 Depth=3
	s_or_b32 exec_lo, exec_lo, s62
	s_xor_b32 s16, s63, -1
	s_and_saveexec_b32 s62, s16
	s_xor_b32 s16, exec_lo, s62
	s_cbranch_execz .LBB6_288
; %bb.287:                              ;   in Loop: Header=BB6_274 Depth=3
	v_or_b32_e32 v116, 64, v116
	s_waitcnt vmcnt(0) lgkmcnt(0)
	s_waitcnt_vscnt null, 0x0
	ds_write_b32 v0, v10
	s_trap 2
.LBB6_288:                              ;   in Loop: Header=BB6_274 Depth=3
	s_or_b32 exec_lo, exec_lo, s16
.LBB6_289:                              ;   in Loop: Header=BB6_274 Depth=3
	s_or_b32 exec_lo, exec_lo, s61
	v_and_b32_e32 v1, 0x108, v116
	s_mov_b32 s16, exec_lo
	;;#ASMSTART
	s_wakeup
	;;#ASMEND
                                        ; implicit-def: $vgpr10_vgpr11
	v_cmpx_ne_u32_e32 0x108, v1
	s_xor_b32 s16, exec_lo, s16
; %bb.290:                              ;   in Loop: Header=BB6_274 Depth=3
	v_and_b32_e32 v10, 7, v80
	v_mov_b32_e32 v11, v2
                                        ; implicit-def: $vgpr80_vgpr81
; %bb.291:                              ;   in Loop: Header=BB6_274 Depth=3
	s_andn2_saveexec_b32 s16, s16
	s_cbranch_execz .LBB6_293
; %bb.292:                              ;   in Loop: Header=BB6_274 Depth=3
	v_and_b32_e32 v10, 7, v80
	v_ashrrev_i32_e32 v85, 31, v84
	v_mov_b32_e32 v11, v2
	v_mad_u64_u32 v[12:13], null, v10, 24, v[6:7]
	flat_store_dwordx2 v[12:13], v[84:85] offset:8
.LBB6_293:                              ;   in Loop: Header=BB6_274 Depth=3
	s_or_b32 exec_lo, exec_lo, s16
	v_and_b32_e32 v1, 0x100, v116
	s_mov_b32 s16, -1
	s_mov_b32 s61, exec_lo
                                        ; implicit-def: $vgpr12_vgpr13
	v_cmpx_ne_u32_e32 0, v1
	s_cbranch_execz .LBB6_297
; %bb.294:                              ;   in Loop: Header=BB6_274 Depth=3
	v_mad_u64_u32 v[14:15], null, v10, 24, v[6:7]
	s_mov_b32 s62, exec_lo
	v_mov_b32_e32 v12, v15
	v_mad_u64_u32 v[12:13], null, v11, 24, v[12:13]
	v_mov_b32_e32 v15, v12
                                        ; implicit-def: $vgpr12_vgpr13
	flat_load_dword v1, v[14:15]
	s_waitcnt vmcnt(0) lgkmcnt(0)
	v_cmp_ne_u32_e32 vcc_lo, 1, v1
	v_cmpx_eq_u32_e32 1, v1
	s_cbranch_execz .LBB6_296
; %bb.295:                              ;   in Loop: Header=BB6_274 Depth=3
	flat_load_dword v12, v[14:15] offset:4 glc dlc
	s_waitcnt vmcnt(0) lgkmcnt(0)
	v_ashrrev_i32_e32 v13, 31, v12
.LBB6_296:                              ;   in Loop: Header=BB6_274 Depth=3
	s_or_b32 exec_lo, exec_lo, s62
	s_orn2_b32 s16, vcc_lo, exec_lo
.LBB6_297:                              ;   in Loop: Header=BB6_274 Depth=3
	s_or_b32 exec_lo, exec_lo, s61
	s_and_saveexec_b32 s61, s16
; %bb.298:                              ;   in Loop: Header=BB6_274 Depth=3
	v_mul_lo_u32 v1, v11, v117
	v_mul_lo_u32 v4, v10, v118
	v_mad_u64_u32 v[12:13], null, v10, v117, 0
	v_add3_u32 v13, v13, v4, v1
; %bb.299:                              ;   in Loop: Header=BB6_274 Depth=3
	s_or_b32 exec_lo, exec_lo, s61
	v_cmp_eq_u32_e32 vcc_lo, 0, v3
	v_and_b32_e32 v3, 0x2000, v116
	s_mov_b32 s16, exec_lo
	v_cndmask_b32_e32 v1, 0xc8, v42, vcc_lo
	v_add_co_u32 v10, vcc_lo, v50, v12
	v_add_co_ci_u32_e64 v11, null, v51, v13, vcc_lo
	v_add_nc_u32_e32 v1, v0, v1
	ds_write_b64 v1, v[10:11] offset:584
	v_cmpx_ne_u32_e32 0, v3
	s_cbranch_execz .LBB6_301
; %bb.300:                              ;   in Loop: Header=BB6_274 Depth=3
	ds_read_b64 v[10:11], v0 offset:872
	s_waitcnt lgkmcnt(0)
	v_add_co_u32 v10, vcc_lo, v10, 1
	v_add_co_ci_u32_e64 v11, null, 0, v11, vcc_lo
	ds_write_b64 v0, v[10:11] offset:872
.LBB6_301:                              ;   in Loop: Header=BB6_274 Depth=3
	s_or_b32 exec_lo, exec_lo, s16
	v_mov_b32_e32 v81, v9
	v_mov_b32_e32 v80, v8
.LBB6_302:                              ;   in Loop: Header=BB6_274 Depth=3
	s_or_b32 exec_lo, exec_lo, s17
	s_and_saveexec_b32 s16, s6
	s_cbranch_execz .LBB6_321
; %bb.303:                              ;   in Loop: Header=BB6_274 Depth=3
	s_and_saveexec_b32 s17, s29
	s_xor_b32 s17, exec_lo, s17
	s_cbranch_execz .LBB6_318
; %bb.304:                              ;   in Loop: Header=BB6_274 Depth=3
	s_and_saveexec_b32 s61, s11
	s_cbranch_execz .LBB6_317
; %bb.305:                              ;   in Loop: Header=BB6_274 Depth=3
	s_mov_b32 s63, exec_lo
	s_mov_b32 s62, exec_lo
	v_mbcnt_lo_u32_b32 v1, s63, 0
	s_waitcnt vmcnt(0) lgkmcnt(0)
	s_waitcnt_vscnt null, 0x0
	buffer_gl1_inv
	buffer_gl0_inv
	v_cmpx_eq_u32_e32 0, v1
	s_cbranch_execz .LBB6_307
; %bb.306:                              ;   in Loop: Header=BB6_274 Depth=3
	s_bcnt1_i32_b32 s63, s63
	v_mov_b32_e32 v9, v2
	v_mov_b32_e32 v8, s63
	ds_add_u64 v0, v[8:9]
	s_trap 2
.LBB6_307:                              ;   in Loop: Header=BB6_274 Depth=3
	s_or_b32 exec_lo, exec_lo, s62
	s_trap 2
	ds_read_b64 v[8:9], v0
	s_waitcnt lgkmcnt(0)
	buffer_gl0_inv
	v_add_co_u32 v54, vcc_lo, v54, v119
	v_add_co_ci_u32_e64 v55, null, 0, v55, vcc_lo
	s_mov_b32 s62, exec_lo
	v_cmpx_lt_u64_e64 v[8:9], v[54:55]
	s_cbranch_execz .LBB6_316
; %bb.308:                              ;   in Loop: Header=BB6_274 Depth=3
	s_mov_b32 s63, 0
	s_mov_b32 s74, 0
                                        ; implicit-def: $sgpr72
                                        ; implicit-def: $sgpr73
	s_inst_prefetch 0x1
	s_branch .LBB6_310
	.p2align	6
.LBB6_309:                              ;   in Loop: Header=BB6_310 Depth=4
	s_or_b32 exec_lo, exec_lo, s76
	s_and_b32 s75, exec_lo, s77
	s_or_b32 s63, s75, s63
	s_andn2_b32 s72, s72, exec_lo
	s_and_b32 s75, s73, exec_lo
	s_or_b32 s72, s72, s75
	s_andn2_b32 exec_lo, exec_lo, s63
	s_cbranch_execz .LBB6_314
.LBB6_310:                              ;   Parent Loop BB6_47 Depth=1
                                        ;     Parent Loop BB6_271 Depth=2
                                        ;       Parent Loop BB6_274 Depth=3
                                        ; =>      This Inner Loop Header: Depth=4
	s_add_i32 s74, s74, 1
	s_cmpk_lg_i32 s74, 0x2710
	s_cselect_b32 s75, -1, 0
	s_and_b32 vcc_lo, exec_lo, s75
	s_cbranch_vccz .LBB6_312
; %bb.311:                              ;   in Loop: Header=BB6_310 Depth=4
	s_mov_b32 s77, -1
	s_or_b32 s73, s73, exec_lo
	s_and_saveexec_b32 s76, s75
	s_cbranch_execz .LBB6_309
	s_branch .LBB6_313
	.p2align	6
.LBB6_312:                              ;   in Loop: Header=BB6_310 Depth=4
	s_trap 2
	ds_read_b64 v[8:9], v0
	s_andn2_b32 s75, s75, exec_lo
	s_mov_b32 s74, 0
	s_waitcnt lgkmcnt(0)
	flat_load_dword v1, v[8:9] glc dlc
	s_waitcnt vmcnt(0) lgkmcnt(0)
	buffer_gl1_inv
	buffer_gl0_inv
	v_cmp_eq_u32_e32 vcc_lo, 0, v1
	s_and_b32 s76, vcc_lo, exec_lo
	s_or_b32 s75, s75, s76
	s_mov_b32 s77, -1
	s_or_b32 s73, s73, exec_lo
	s_and_saveexec_b32 s76, s75
	s_cbranch_execz .LBB6_309
.LBB6_313:                              ;   in Loop: Header=BB6_310 Depth=4
	s_sleep 1
	s_trap 2
	ds_read_b64 v[8:9], v0
	s_waitcnt lgkmcnt(0)
	buffer_gl0_inv
	s_andn2_b32 s73, s73, exec_lo
	v_cmp_ge_u64_e32 vcc_lo, v[8:9], v[54:55]
	s_orn2_b32 s77, vcc_lo, exec_lo
	s_branch .LBB6_309
.LBB6_314:                              ;   in Loop: Header=BB6_274 Depth=3
	s_inst_prefetch 0x2
	s_or_b32 exec_lo, exec_lo, s63
	s_and_saveexec_b32 s63, s72
	s_xor_b32 s63, exec_lo, s63
	s_cbranch_execz .LBB6_316
; %bb.315:                              ;   in Loop: Header=BB6_274 Depth=3
	ds_write_b32 v0, v41
	s_trap 2
.LBB6_316:                              ;   in Loop: Header=BB6_274 Depth=3
	s_or_b32 exec_lo, exec_lo, s62
	;;#ASMSTART
	s_wakeup
	;;#ASMEND
.LBB6_317:                              ;   in Loop: Header=BB6_274 Depth=3
	s_or_b32 exec_lo, exec_lo, s61
.LBB6_318:                              ;   in Loop: Header=BB6_274 Depth=3
	s_andn2_saveexec_b32 s17, s17
	s_cbranch_execz .LBB6_320
; %bb.319:                              ;   in Loop: Header=BB6_274 Depth=3
	s_waitcnt vmcnt(0) lgkmcnt(0)
	s_waitcnt_vscnt null, 0x0
	buffer_gl1_inv
	buffer_gl0_inv
	s_barrier
.LBB6_320:                              ;   in Loop: Header=BB6_274 Depth=3
	s_or_b32 exec_lo, exec_lo, s17
.LBB6_321:                              ;   in Loop: Header=BB6_274 Depth=3
	s_or_b32 exec_lo, exec_lo, s16
	s_trap 2
	ds_read_b32 v3, v0
	v_and_b32_e32 v1, 0x4000, v116
	s_xor_b32 s16, s5, -1
	v_cmp_ne_u32_e32 vcc_lo, 0, v1
	s_and_b32 s17, s16, vcc_lo
	s_and_saveexec_b32 s16, s17
	s_cbranch_execz .LBB6_340
; %bb.322:                              ;   in Loop: Header=BB6_274 Depth=3
	s_and_saveexec_b32 s17, s29
	s_xor_b32 s17, exec_lo, s17
	s_cbranch_execz .LBB6_337
; %bb.323:                              ;   in Loop: Header=BB6_274 Depth=3
	s_and_saveexec_b32 s61, s11
	s_cbranch_execz .LBB6_336
; %bb.324:                              ;   in Loop: Header=BB6_274 Depth=3
	s_mov_b32 s63, exec_lo
	s_mov_b32 s62, exec_lo
	v_mbcnt_lo_u32_b32 v1, s63, 0
	s_waitcnt vmcnt(0) lgkmcnt(0)
	s_waitcnt_vscnt null, 0x0
	buffer_gl1_inv
	buffer_gl0_inv
	v_cmpx_eq_u32_e32 0, v1
	s_cbranch_execz .LBB6_326
; %bb.325:                              ;   in Loop: Header=BB6_274 Depth=3
	s_bcnt1_i32_b32 s63, s63
	v_mov_b32_e32 v9, v2
	v_mov_b32_e32 v8, s63
	ds_add_u64 v0, v[8:9]
	s_trap 2
.LBB6_326:                              ;   in Loop: Header=BB6_274 Depth=3
	s_or_b32 exec_lo, exec_lo, s62
	s_trap 2
	ds_read_b64 v[8:9], v0
	s_waitcnt lgkmcnt(0)
	buffer_gl0_inv
	v_add_co_u32 v54, vcc_lo, v54, v119
	v_add_co_ci_u32_e64 v55, null, 0, v55, vcc_lo
	s_mov_b32 s62, exec_lo
	v_cmpx_lt_u64_e64 v[8:9], v[54:55]
	s_cbranch_execz .LBB6_335
; %bb.327:                              ;   in Loop: Header=BB6_274 Depth=3
	s_mov_b32 s63, 0
	s_mov_b32 s74, 0
                                        ; implicit-def: $sgpr72
                                        ; implicit-def: $sgpr73
	s_inst_prefetch 0x1
	s_branch .LBB6_329
	.p2align	6
.LBB6_328:                              ;   in Loop: Header=BB6_329 Depth=4
	s_or_b32 exec_lo, exec_lo, s76
	s_and_b32 s75, exec_lo, s77
	s_or_b32 s63, s75, s63
	s_andn2_b32 s72, s72, exec_lo
	s_and_b32 s75, s73, exec_lo
	s_or_b32 s72, s72, s75
	s_andn2_b32 exec_lo, exec_lo, s63
	s_cbranch_execz .LBB6_333
.LBB6_329:                              ;   Parent Loop BB6_47 Depth=1
                                        ;     Parent Loop BB6_271 Depth=2
                                        ;       Parent Loop BB6_274 Depth=3
                                        ; =>      This Inner Loop Header: Depth=4
	s_add_i32 s74, s74, 1
	s_cmpk_lg_i32 s74, 0x2710
	s_cselect_b32 s75, -1, 0
	s_and_b32 vcc_lo, exec_lo, s75
	s_cbranch_vccz .LBB6_331
; %bb.330:                              ;   in Loop: Header=BB6_329 Depth=4
	s_mov_b32 s77, -1
	s_or_b32 s73, s73, exec_lo
	s_and_saveexec_b32 s76, s75
	s_cbranch_execz .LBB6_328
	s_branch .LBB6_332
	.p2align	6
.LBB6_331:                              ;   in Loop: Header=BB6_329 Depth=4
	s_trap 2
	ds_read_b64 v[8:9], v0
	s_andn2_b32 s75, s75, exec_lo
	s_mov_b32 s74, 0
	s_waitcnt lgkmcnt(0)
	flat_load_dword v1, v[8:9] glc dlc
	s_waitcnt vmcnt(0) lgkmcnt(0)
	buffer_gl1_inv
	buffer_gl0_inv
	v_cmp_eq_u32_e32 vcc_lo, 0, v1
	s_and_b32 s76, vcc_lo, exec_lo
	s_or_b32 s75, s75, s76
	s_mov_b32 s77, -1
	s_or_b32 s73, s73, exec_lo
	s_and_saveexec_b32 s76, s75
	s_cbranch_execz .LBB6_328
.LBB6_332:                              ;   in Loop: Header=BB6_329 Depth=4
	s_sleep 1
	s_trap 2
	ds_read_b64 v[8:9], v0
	s_waitcnt lgkmcnt(0)
	buffer_gl0_inv
	s_andn2_b32 s73, s73, exec_lo
	v_cmp_ge_u64_e32 vcc_lo, v[8:9], v[54:55]
	s_orn2_b32 s77, vcc_lo, exec_lo
	s_branch .LBB6_328
.LBB6_333:                              ;   in Loop: Header=BB6_274 Depth=3
	s_inst_prefetch 0x2
	s_or_b32 exec_lo, exec_lo, s63
	s_and_saveexec_b32 s63, s72
	s_xor_b32 s63, exec_lo, s63
	s_cbranch_execz .LBB6_335
; %bb.334:                              ;   in Loop: Header=BB6_274 Depth=3
	ds_write_b32 v0, v41
	s_trap 2
.LBB6_335:                              ;   in Loop: Header=BB6_274 Depth=3
	s_or_b32 exec_lo, exec_lo, s62
	;;#ASMSTART
	s_wakeup
	;;#ASMEND
.LBB6_336:                              ;   in Loop: Header=BB6_274 Depth=3
	s_or_b32 exec_lo, exec_lo, s61
.LBB6_337:                              ;   in Loop: Header=BB6_274 Depth=3
	s_andn2_saveexec_b32 s17, s17
	s_cbranch_execz .LBB6_339
; %bb.338:                              ;   in Loop: Header=BB6_274 Depth=3
	s_waitcnt vmcnt(0) lgkmcnt(0)
	s_waitcnt_vscnt null, 0x0
	buffer_gl1_inv
	buffer_gl0_inv
	s_barrier
.LBB6_339:                              ;   in Loop: Header=BB6_274 Depth=3
	s_or_b32 exec_lo, exec_lo, s17
.LBB6_340:                              ;   in Loop: Header=BB6_274 Depth=3
	s_or_b32 exec_lo, exec_lo, s16
	s_trap 2
	ds_read_b64 v[96:97], v0
	s_waitcnt lgkmcnt(0)
	v_cmp_eq_u64_e32 vcc_lo, 0, v[96:97]
	s_cbranch_vccnz .LBB6_348
; %bb.341:                              ;   in Loop: Header=BB6_274 Depth=3
	s_trap 2
	ds_read_b64 v[98:99], v0
	s_waitcnt lgkmcnt(0)
	v_cmp_eq_u64_e32 vcc_lo, 0, v[98:99]
	s_cbranch_vccnz .LBB6_348
; %bb.342:                              ;   in Loop: Header=BB6_274 Depth=3
	s_mov_b32 s16, -1
	s_and_saveexec_b32 s17, s15
	s_cbranch_execz .LBB6_344
; %bb.343:                              ;   in Loop: Header=BB6_274 Depth=3
	ds_read_b32 v1, v0 offset:720
	s_waitcnt lgkmcnt(0)
	v_and_b32_e32 v1, 15, v1
	v_cmp_eq_u32_e32 vcc_lo, 0, v1
	s_orn2_b32 s16, vcc_lo, exec_lo
.LBB6_344:                              ;   in Loop: Header=BB6_274 Depth=3
	s_or_b32 exec_lo, exec_lo, s17
	s_and_saveexec_b32 s17, s14
	s_cbranch_execz .LBB6_346
; %bb.345:                              ;   in Loop: Header=BB6_274 Depth=3
	ds_read_b32 v1, v0 offset:784
	s_waitcnt lgkmcnt(0)
	v_and_b32_e32 v1, 15, v1
	v_cmp_eq_u32_e32 vcc_lo, 0, v1
	s_and_b32 s61, s16, vcc_lo
	s_andn2_b32 s16, s16, exec_lo
	s_and_b32 s61, s61, exec_lo
	s_or_b32 s16, s16, s61
.LBB6_346:                              ;   in Loop: Header=BB6_274 Depth=3
	s_or_b32 exec_lo, exec_lo, s17
	v_cmp_eq_u32_e32 vcc_lo, 0, v3
	s_xor_b32 s16, s16, -1
	v_mov_b32_e32 v14, 0
	v_cndmask_b32_e64 v1, 0, 1, s16
	v_mov_b32_e32 v16, v0
	v_cndmask_b32_e32 v3, 0, v84, vcc_lo
	v_mov_b32_e32 v8, v60
	s_mov_b32 s16, -1
	v_cmp_ne_u32_e32 vcc_lo, 0, v1
	v_mov_b32_e32 v15, v3
	s_cbranch_vccz .LBB6_353
; %bb.347:                              ;   in Loop: Header=BB6_274 Depth=3
	s_and_saveexec_b32 s17, s16
	s_cbranch_execnz .LBB6_366
	s_branch .LBB6_374
.LBB6_348:                              ;   in Loop: Header=BB6_274 Depth=3
	s_mov_b32 s16, 0
	s_and_saveexec_b32 s17, s6
	s_cbranch_execnz .LBB6_375
.LBB6_349:                              ;   in Loop: Header=BB6_274 Depth=3
	s_or_b32 exec_lo, exec_lo, s17
                                        ; implicit-def: $vgpr3
	s_and_saveexec_b32 s17, s13
	s_xor_b32 s17, exec_lo, s17
	s_cbranch_execz .LBB6_393
.LBB6_350:                              ;   in Loop: Header=BB6_274 Depth=3
	v_and_b32_e32 v1, 16, v116
	v_and_b32_e32 v3, 16, v116
	v_cmp_ne_u32_e32 vcc_lo, 0, v1
	s_and_b32 s61, vcc_lo, s16
	s_and_saveexec_b32 s16, s61
	s_cbranch_execz .LBB6_352
; %bb.351:                              ;   in Loop: Header=BB6_274 Depth=3
	v_mov_b32_e32 v3, 1
	s_waitcnt vmcnt(0) lgkmcnt(0)
	s_waitcnt_vscnt null, 0x0
	buffer_gl1_inv
	buffer_gl0_inv
.LBB6_352:                              ;   in Loop: Header=BB6_274 Depth=3
	s_or_b32 exec_lo, exec_lo, s16
	s_andn2_saveexec_b32 s16, s17
	s_cbranch_execz .LBB6_412
	s_branch .LBB6_394
.LBB6_353:                              ;   in Loop: Header=BB6_274 Depth=3
	v_ashrrev_i32_e32 v1, 31, v3
	s_mov_b32 s16, exec_lo
	v_lshrrev_b32_e32 v1, 21, v1
	v_add_nc_u32_e32 v1, v3, v1
	v_ashrrev_i32_e32 v89, 11, v1
	v_sub_nc_u32_e32 v85, v89, v60
	v_cmpx_lt_i32_e32 0, v85
	s_cbranch_execz .LBB6_357
; %bb.354:                              ;   in Loop: Header=BB6_274 Depth=3
	s_trap 2
	s_clause 0x1
	buffer_load_dword v1, off, s[0:3], s33 offset:208
	buffer_load_dword v4, off, s[0:3], s33 offset:212
	ds_read_b64 v[8:9], v0
	s_mov_b32 s17, 0
	s_waitcnt vmcnt(1)
	v_add_co_u32 v100, vcc_lo, v96, v1
	s_waitcnt vmcnt(0)
	v_add_co_ci_u32_e64 v101, null, v97, v4, vcc_lo
	s_waitcnt lgkmcnt(0)
	v_add_co_u32 v102, vcc_lo, v8, v1
	v_add_co_ci_u32_e64 v103, null, v9, v4, vcc_lo
	v_add_co_u32 v112, vcc_lo, v98, v1
	v_add_co_ci_u32_e64 v113, null, v99, v4, vcc_lo
.LBB6_355:                              ;   Parent Loop BB6_47 Depth=1
                                        ;     Parent Loop BB6_271 Depth=2
                                        ;       Parent Loop BB6_274 Depth=3
                                        ; =>      This Inner Loop Header: Depth=4
	s_clause 0x3
	global_load_dwordx4 v[16:19], v[100:101], off slc
	global_load_dwordx4 v[32:35], v[100:101], off offset:512 slc
	global_load_dwordx4 v[20:23], v[100:101], off offset:1024 slc
	;; [unrolled: 1-line block ×3, first 2 shown]
	s_clause 0x3
	global_load_dwordx4 v[90:93], v[102:103], off slc
	global_load_dwordx4 v[104:107], v[102:103], off offset:512 slc
	global_load_dwordx4 v[24:27], v[102:103], off offset:1024 slc
	;; [unrolled: 1-line block ×3, first 2 shown]
	v_add_co_u32 v100, vcc_lo, v100, v56
	v_sub_nc_u32_e32 v85, v85, v119
	v_add_co_ci_u32_e64 v101, null, 0, v101, vcc_lo
	v_add_co_u32 v102, vcc_lo, v102, v56
	v_add_co_ci_u32_e64 v103, null, 0, v103, vcc_lo
	s_waitcnt vmcnt(7)
	v_and_b32_e32 v5, 0xff00, v16
	v_lshlrev_b32_sdwa v1, v43, v16 dst_sel:DWORD dst_unused:UNUSED_PAD src0_sel:DWORD src1_sel:BYTE_3
	s_waitcnt vmcnt(3)
	v_lshrrev_b32_e32 v28, 8, v90
	v_mul_lo_u32 v4, v90, v16
	v_mul_u32_u24_sdwa v1, v90, v1 dst_sel:DWORD dst_unused:UNUSED_PAD src0_sel:BYTE_3 src1_sel:DWORD
	v_mul_u32_u24_e32 v5, v28, v5
	v_lshrrev_b32_e32 v28, 8, v91
	v_perm_b32 v4, v5, v4, 0xc0c0500
	v_mul_u32_u24_sdwa v5, v90, v16 dst_sel:DWORD dst_unused:UNUSED_PAD src0_sel:WORD_1 src1_sel:WORD_1
	v_perm_b32 v1, v1, v5, 0xc0c0500
	v_and_b32_e32 v5, 0xff00, v17
	v_lshl_or_b32 v16, v1, 16, v4
	v_mul_lo_u32 v4, v91, v17
	v_lshlrev_b32_sdwa v1, v43, v17 dst_sel:DWORD dst_unused:UNUSED_PAD src0_sel:DWORD src1_sel:BYTE_3
	v_mul_u32_u24_e32 v5, v28, v5
	v_lshrrev_b32_e32 v28, 8, v92
	v_mul_u32_u24_sdwa v1, v91, v1 dst_sel:DWORD dst_unused:UNUSED_PAD src0_sel:BYTE_3 src1_sel:DWORD
	v_perm_b32 v4, v5, v4, 0xc0c0500
	v_mul_u32_u24_sdwa v5, v91, v17 dst_sel:DWORD dst_unused:UNUSED_PAD src0_sel:WORD_1 src1_sel:WORD_1
	v_perm_b32 v1, v1, v5, 0xc0c0500
	v_and_b32_e32 v5, 0xff00, v18
	v_lshl_or_b32 v17, v1, 16, v4
	v_mul_lo_u32 v4, v92, v18
	v_lshlrev_b32_sdwa v1, v43, v18 dst_sel:DWORD dst_unused:UNUSED_PAD src0_sel:DWORD src1_sel:BYTE_3
	v_mul_u32_u24_e32 v5, v28, v5
	v_lshrrev_b32_e32 v28, 8, v93
	v_mul_u32_u24_sdwa v1, v92, v1 dst_sel:DWORD dst_unused:UNUSED_PAD src0_sel:BYTE_3 src1_sel:DWORD
	v_perm_b32 v4, v5, v4, 0xc0c0500
	v_mul_u32_u24_sdwa v5, v92, v18 dst_sel:DWORD dst_unused:UNUSED_PAD src0_sel:WORD_1 src1_sel:WORD_1
	v_perm_b32 v1, v1, v5, 0xc0c0500
	v_and_b32_e32 v5, 0xff00, v19
	v_lshl_or_b32 v18, v1, 16, v4
	v_mul_lo_u32 v4, v93, v19
	v_lshlrev_b32_sdwa v1, v43, v19 dst_sel:DWORD dst_unused:UNUSED_PAD src0_sel:DWORD src1_sel:BYTE_3
	v_mul_u32_u24_e32 v5, v28, v5
	s_waitcnt vmcnt(2)
	v_lshrrev_b32_e32 v28, 8, v104
	v_mul_u32_u24_sdwa v1, v93, v1 dst_sel:DWORD dst_unused:UNUSED_PAD src0_sel:BYTE_3 src1_sel:DWORD
	v_perm_b32 v4, v5, v4, 0xc0c0500
	v_mul_u32_u24_sdwa v5, v93, v19 dst_sel:DWORD dst_unused:UNUSED_PAD src0_sel:WORD_1 src1_sel:WORD_1
	v_perm_b32 v1, v1, v5, 0xc0c0500
	v_and_b32_e32 v5, 0xff00, v32
	v_lshl_or_b32 v19, v1, 16, v4
	v_mul_lo_u32 v4, v104, v32
	v_lshlrev_b32_sdwa v1, v43, v32 dst_sel:DWORD dst_unused:UNUSED_PAD src0_sel:DWORD src1_sel:BYTE_3
	v_mul_u32_u24_e32 v5, v28, v5
	v_lshrrev_b32_e32 v28, 8, v105
	v_mul_u32_u24_sdwa v1, v104, v1 dst_sel:DWORD dst_unused:UNUSED_PAD src0_sel:BYTE_3 src1_sel:DWORD
	v_perm_b32 v4, v5, v4, 0xc0c0500
	v_mul_u32_u24_sdwa v5, v104, v32 dst_sel:DWORD dst_unused:UNUSED_PAD src0_sel:WORD_1 src1_sel:WORD_1
	v_perm_b32 v1, v1, v5, 0xc0c0500
	v_and_b32_e32 v5, 0xff00, v33
	v_lshl_or_b32 v32, v1, 16, v4
	v_mul_lo_u32 v4, v105, v33
	v_lshlrev_b32_sdwa v1, v43, v33 dst_sel:DWORD dst_unused:UNUSED_PAD src0_sel:DWORD src1_sel:BYTE_3
	v_mul_u32_u24_e32 v5, v28, v5
	;; [unrolled: 10-line block ×4, first 2 shown]
	s_waitcnt vmcnt(1)
	v_lshrrev_b32_e32 v28, 8, v24
	v_mul_u32_u24_sdwa v1, v107, v1 dst_sel:DWORD dst_unused:UNUSED_PAD src0_sel:BYTE_3 src1_sel:DWORD
	v_perm_b32 v4, v5, v4, 0xc0c0500
	v_mul_u32_u24_sdwa v5, v107, v35 dst_sel:DWORD dst_unused:UNUSED_PAD src0_sel:WORD_1 src1_sel:WORD_1
	v_perm_b32 v1, v1, v5, 0xc0c0500
	v_and_b32_e32 v5, 0xff00, v20
	v_lshl_or_b32 v35, v1, 16, v4
	v_mul_lo_u32 v4, v24, v20
	v_lshlrev_b32_sdwa v1, v43, v20 dst_sel:DWORD dst_unused:UNUSED_PAD src0_sel:DWORD src1_sel:BYTE_3
	v_mul_u32_u24_e32 v5, v28, v5
	v_mul_u32_u24_sdwa v1, v24, v1 dst_sel:DWORD dst_unused:UNUSED_PAD src0_sel:BYTE_3 src1_sel:DWORD
	v_perm_b32 v4, v5, v4, 0xc0c0500
	v_mul_u32_u24_sdwa v5, v24, v20 dst_sel:DWORD dst_unused:UNUSED_PAD src0_sel:WORD_1 src1_sel:WORD_1
	v_lshrrev_b32_e32 v24, 8, v25
	v_perm_b32 v1, v1, v5, 0xc0c0500
	v_and_b32_e32 v5, 0xff00, v21
	v_lshl_or_b32 v20, v1, 16, v4
	v_mul_lo_u32 v4, v25, v21
	v_lshlrev_b32_sdwa v1, v43, v21 dst_sel:DWORD dst_unused:UNUSED_PAD src0_sel:DWORD src1_sel:BYTE_3
	v_mul_u32_u24_e32 v5, v24, v5
	v_lshrrev_b32_e32 v24, 8, v26
	v_mul_u32_u24_sdwa v1, v25, v1 dst_sel:DWORD dst_unused:UNUSED_PAD src0_sel:BYTE_3 src1_sel:DWORD
	v_perm_b32 v4, v5, v4, 0xc0c0500
	v_mul_u32_u24_sdwa v5, v25, v21 dst_sel:DWORD dst_unused:UNUSED_PAD src0_sel:WORD_1 src1_sel:WORD_1
	v_perm_b32 v1, v1, v5, 0xc0c0500
	v_and_b32_e32 v5, 0xff00, v22
	v_lshl_or_b32 v21, v1, 16, v4
	v_mul_lo_u32 v4, v26, v22
	v_lshlrev_b32_sdwa v1, v43, v22 dst_sel:DWORD dst_unused:UNUSED_PAD src0_sel:DWORD src1_sel:BYTE_3
	v_mul_u32_u24_e32 v5, v24, v5
	v_lshrrev_b32_e32 v24, 8, v27
	v_mul_u32_u24_sdwa v1, v26, v1 dst_sel:DWORD dst_unused:UNUSED_PAD src0_sel:BYTE_3 src1_sel:DWORD
	v_perm_b32 v4, v5, v4, 0xc0c0500
	v_mul_u32_u24_sdwa v5, v26, v22 dst_sel:DWORD dst_unused:UNUSED_PAD src0_sel:WORD_1 src1_sel:WORD_1
	v_perm_b32 v1, v1, v5, 0xc0c0500
	v_and_b32_e32 v5, 0xff00, v23
	v_lshl_or_b32 v22, v1, 16, v4
	v_mul_lo_u32 v4, v27, v23
	v_lshlrev_b32_sdwa v1, v43, v23 dst_sel:DWORD dst_unused:UNUSED_PAD src0_sel:DWORD src1_sel:BYTE_3
	v_mul_u32_u24_e32 v5, v24, v5
	s_waitcnt vmcnt(0)
	v_lshrrev_b32_e32 v24, 8, v12
	v_mul_u32_u24_sdwa v1, v27, v1 dst_sel:DWORD dst_unused:UNUSED_PAD src0_sel:BYTE_3 src1_sel:DWORD
	v_perm_b32 v4, v5, v4, 0xc0c0500
	v_mul_u32_u24_sdwa v5, v27, v23 dst_sel:DWORD dst_unused:UNUSED_PAD src0_sel:WORD_1 src1_sel:WORD_1
	v_perm_b32 v1, v1, v5, 0xc0c0500
	v_and_b32_e32 v5, 0xff00, v8
	v_lshl_or_b32 v23, v1, 16, v4
	v_mul_lo_u32 v4, v12, v8
	v_lshlrev_b32_sdwa v1, v43, v8 dst_sel:DWORD dst_unused:UNUSED_PAD src0_sel:DWORD src1_sel:BYTE_3
	v_mul_u32_u24_e32 v5, v24, v5
	v_mul_u32_u24_sdwa v1, v12, v1 dst_sel:DWORD dst_unused:UNUSED_PAD src0_sel:BYTE_3 src1_sel:DWORD
	v_perm_b32 v4, v5, v4, 0xc0c0500
	v_mul_u32_u24_sdwa v5, v12, v8 dst_sel:DWORD dst_unused:UNUSED_PAD src0_sel:WORD_1 src1_sel:WORD_1
	v_lshrrev_b32_e32 v12, 8, v13
	v_perm_b32 v1, v1, v5, 0xc0c0500
	v_and_b32_e32 v5, 0xff00, v9
	v_lshl_or_b32 v8, v1, 16, v4
	v_mul_lo_u32 v4, v13, v9
	v_lshlrev_b32_sdwa v1, v43, v9 dst_sel:DWORD dst_unused:UNUSED_PAD src0_sel:DWORD src1_sel:BYTE_3
	v_mul_u32_u24_e32 v5, v12, v5
	v_lshrrev_b32_e32 v12, 8, v14
	v_mul_u32_u24_sdwa v1, v13, v1 dst_sel:DWORD dst_unused:UNUSED_PAD src0_sel:BYTE_3 src1_sel:DWORD
	v_perm_b32 v4, v5, v4, 0xc0c0500
	v_mul_u32_u24_sdwa v5, v13, v9 dst_sel:DWORD dst_unused:UNUSED_PAD src0_sel:WORD_1 src1_sel:WORD_1
	v_perm_b32 v1, v1, v5, 0xc0c0500
	v_and_b32_e32 v5, 0xff00, v10
	v_lshl_or_b32 v9, v1, 16, v4
	v_mul_lo_u32 v4, v14, v10
	v_lshlrev_b32_sdwa v1, v43, v10 dst_sel:DWORD dst_unused:UNUSED_PAD src0_sel:DWORD src1_sel:BYTE_3
	v_mul_u32_u24_e32 v5, v12, v5
	v_lshrrev_b32_e32 v12, 8, v15
	v_mul_u32_u24_sdwa v1, v14, v1 dst_sel:DWORD dst_unused:UNUSED_PAD src0_sel:BYTE_3 src1_sel:DWORD
	v_perm_b32 v4, v5, v4, 0xc0c0500
	v_mul_u32_u24_sdwa v5, v14, v10 dst_sel:DWORD dst_unused:UNUSED_PAD src0_sel:WORD_1 src1_sel:WORD_1
	v_perm_b32 v1, v1, v5, 0xc0c0500
	v_and_b32_e32 v5, 0xff00, v11
	v_lshl_or_b32 v10, v1, 16, v4
	v_mul_lo_u32 v4, v15, v11
	v_lshlrev_b32_sdwa v1, v43, v11 dst_sel:DWORD dst_unused:UNUSED_PAD src0_sel:DWORD src1_sel:BYTE_3
	v_mul_u32_u24_e32 v5, v12, v5
	v_mul_u32_u24_sdwa v1, v15, v1 dst_sel:DWORD dst_unused:UNUSED_PAD src0_sel:BYTE_3 src1_sel:DWORD
	v_perm_b32 v4, v5, v4, 0xc0c0500
	v_mul_u32_u24_sdwa v5, v15, v11 dst_sel:DWORD dst_unused:UNUSED_PAD src0_sel:WORD_1 src1_sel:WORD_1
	v_perm_b32 v1, v1, v5, 0xc0c0500
	v_lshl_or_b32 v11, v1, 16, v4
	global_store_dwordx4 v[112:113], v[16:19], off glc slc
	global_store_dwordx4 v[112:113], v[32:35], off offset:512 glc slc
	global_store_dwordx4 v[112:113], v[20:23], off offset:1024 glc slc
	;; [unrolled: 1-line block ×3, first 2 shown]
	v_add_co_u32 v112, vcc_lo, v112, v56
	v_add_co_ci_u32_e64 v113, null, 0, v113, vcc_lo
	v_cmp_gt_i32_e32 vcc_lo, 1, v85
	s_or_b32 s17, vcc_lo, s17
	s_andn2_b32 exec_lo, exec_lo, s17
	s_cbranch_execnz .LBB6_355
; %bb.356:                              ;   in Loop: Header=BB6_274 Depth=3
	s_or_b32 exec_lo, exec_lo, s17
.LBB6_357:                              ;   in Loop: Header=BB6_274 Depth=3
	s_or_b32 exec_lo, exec_lo, s16
	v_lshlrev_b32_e32 v17, 11, v89
	v_mov_b32_e32 v14, 0
	s_mov_b32 s16, 0
	s_mov_b32 s61, exec_lo
                                        ; implicit-def: $vgpr15
                                        ; implicit-def: $vgpr16
                                        ; implicit-def: $vgpr8
	v_cmpx_ne_u32_e64 v3, v17
	s_cbranch_execz .LBB6_365
; %bb.358:                              ;   in Loop: Header=BB6_274 Depth=3
	buffer_load_dword v4, off, s[0:3], s33 offset:188 ; 4-byte Folded Reload
	v_lshlrev_b32_e32 v1, 5, v85
	v_sub_nc_u32_e32 v5, v3, v17
	s_mov_b32 s62, exec_lo
	v_ashrrev_i32_e32 v8, 31, v5
	v_lshrrev_b32_e32 v8, 23, v8
	v_add_nc_u32_e32 v8, v5, v8
	v_and_b32_e32 v18, 0xfffffe00, v8
	v_sub_nc_u32_e32 v20, v5, v18
	v_cmp_lt_i32_e32 vcc_lo, 15, v20
	s_waitcnt vmcnt(0)
	v_sub_nc_u32_e32 v1, v4, v1
	v_ashrrev_i32_e32 v4, 31, v1
	v_lshrrev_b32_e32 v4, 27, v4
	v_add_nc_u32_e32 v4, v1, v4
	v_and_b32_e32 v9, 0xffffffe0, v4
	v_sub_nc_u32_e32 v19, v1, v9
	v_ashrrev_i32_e32 v1, 5, v4
	v_ashrrev_i32_e32 v9, 9, v8
	v_lshlrev_b32_e32 v4, 4, v19
	v_lshl_add_u32 v8, v1, 9, v4
	v_add_co_ci_u32_e64 v4, null, 0, v9, vcc_lo
	v_sub_nc_u32_e32 v14, v5, v8
	v_sub_nc_u32_e32 v21, v4, v1
	v_cmpx_lt_i32_e32 15, v14
	s_cbranch_execz .LBB6_362
; %bb.359:                              ;   in Loop: Header=BB6_274 Depth=3
	s_trap 2
	ds_read_b64 v[10:11], v0
	v_add_nc_u32_e32 v1, v8, v17
	s_mov_b32 s63, 0
	v_ashrrev_i32_e32 v4, 31, v1
	v_add_co_u32 v8, s16, v1, v96
	v_add_co_ci_u32_e64 v9, null, v4, v97, s16
	s_waitcnt lgkmcnt(0)
	v_add_co_u32 v10, s16, v10, v1
	v_add_co_ci_u32_e64 v11, null, v11, v4, s16
	v_add_co_u32 v12, s16, v1, v98
	v_add_co_ci_u32_e64 v13, null, v4, v99, s16
.LBB6_360:                              ;   Parent Loop BB6_47 Depth=1
                                        ;     Parent Loop BB6_271 Depth=2
                                        ;       Parent Loop BB6_274 Depth=3
                                        ; =>      This Inner Loop Header: Depth=4
	global_load_dwordx4 v[22:25], v[10:11], off slc
	global_load_dwordx4 v[32:35], v[8:9], off slc
	v_sub_nc_u32_e32 v14, v14, v46
	v_add_co_u32 v8, s16, v8, v46
	v_add_co_ci_u32_e64 v9, null, 0, v9, s16
	v_add_co_u32 v10, s16, v10, v46
	v_add_co_ci_u32_e64 v11, null, 0, v11, s16
	v_cmp_gt_i32_e64 s16, 16, v14
	v_sub_nc_u32_e32 v21, v21, v119
	s_or_b32 s63, s16, s63
	s_waitcnt vmcnt(1)
	v_lshrrev_b32_e32 v1, 8, v22
	v_lshrrev_b32_e32 v4, 8, v23
	;; [unrolled: 1-line block ×4, first 2 shown]
	s_waitcnt vmcnt(0)
	v_lshlrev_b32_sdwa v16, v43, v32 dst_sel:DWORD dst_unused:UNUSED_PAD src0_sel:DWORD src1_sel:BYTE_3
	v_mul_lo_u32 v26, v22, v32
	v_and_b32_e32 v27, 0xff00, v32
	v_mul_u32_u24_sdwa v28, v22, v32 dst_sel:DWORD dst_unused:UNUSED_PAD src0_sel:WORD_1 src1_sel:WORD_1
	v_lshlrev_b32_sdwa v29, v43, v33 dst_sel:DWORD dst_unused:UNUSED_PAD src0_sel:DWORD src1_sel:BYTE_3
	v_mul_lo_u32 v30, v23, v33
	v_and_b32_e32 v31, 0xff00, v33
	v_mul_u32_u24_sdwa v32, v23, v33 dst_sel:DWORD dst_unused:UNUSED_PAD src0_sel:WORD_1 src1_sel:WORD_1
	v_lshlrev_b32_sdwa v33, v43, v34 dst_sel:DWORD dst_unused:UNUSED_PAD src0_sel:DWORD src1_sel:BYTE_3
	v_and_b32_e32 v37, 0xff00, v34
	v_lshlrev_b32_sdwa v38, v43, v35 dst_sel:DWORD dst_unused:UNUSED_PAD src0_sel:DWORD src1_sel:BYTE_3
	v_and_b32_e32 v66, 0xff00, v35
	v_mul_lo_u32 v36, v24, v34
	v_mul_lo_u32 v39, v25, v35
	v_mul_u32_u24_sdwa v34, v24, v34 dst_sel:DWORD dst_unused:UNUSED_PAD src0_sel:WORD_1 src1_sel:WORD_1
	v_mul_u32_u24_sdwa v35, v25, v35 dst_sel:DWORD dst_unused:UNUSED_PAD src0_sel:WORD_1 src1_sel:WORD_1
	v_mul_u32_u24_e32 v1, v1, v27
	v_mul_u32_u24_sdwa v16, v22, v16 dst_sel:DWORD dst_unused:UNUSED_PAD src0_sel:BYTE_3 src1_sel:DWORD
	v_mul_u32_u24_e32 v4, v4, v31
	v_mul_u32_u24_sdwa v22, v23, v29 dst_sel:DWORD dst_unused:UNUSED_PAD src0_sel:BYTE_3 src1_sel:DWORD
	;; [unrolled: 2-line block ×4, first 2 shown]
	v_perm_b32 v1, v1, v26, 0xc0c0500
	v_perm_b32 v16, v16, v28, 0xc0c0500
	v_perm_b32 v4, v4, v30, 0xc0c0500
	v_perm_b32 v25, v22, v32, 0xc0c0500
	v_perm_b32 v5, v5, v36, 0xc0c0500
	v_perm_b32 v26, v23, v34, 0xc0c0500
	v_perm_b32 v15, v15, v39, 0xc0c0500
	v_perm_b32 v27, v24, v35, 0xc0c0500
	v_lshl_or_b32 v22, v16, 16, v1
	v_lshl_or_b32 v23, v25, 16, v4
	;; [unrolled: 1-line block ×4, first 2 shown]
	global_store_dwordx4 v[12:13], v[22:25], off glc slc
	v_add_co_u32 v12, s17, v12, v46
	v_add_co_ci_u32_e64 v13, null, 0, v13, s17
	s_andn2_b32 exec_lo, exec_lo, s63
	s_cbranch_execnz .LBB6_360
; %bb.361:                              ;   in Loop: Header=BB6_274 Depth=3
	s_or_b32 exec_lo, exec_lo, s63
.LBB6_362:                              ;   in Loop: Header=BB6_274 Depth=3
	s_or_b32 exec_lo, exec_lo, s62
	v_and_b32_e32 v9, 15, v3
	v_mov_b32_e32 v14, 0
	s_mov_b32 s17, 0
	s_mov_b32 s62, exec_lo
                                        ; implicit-def: $vgpr16
                                        ; implicit-def: $vgpr8
	v_cndmask_b32_e32 v15, v20, v9, vcc_lo
	v_cmpx_ne_u32_e32 0, v15
	s_cbranch_execz .LBB6_364
; %bb.363:                              ;   in Loop: Header=BB6_274 Depth=3
	v_cmp_lt_i32_e64 s16, 0, v21
	v_sub_nc_u32_e32 v4, v20, v9
	s_mov_b32 s17, exec_lo
	v_cndmask_b32_e64 v1, 0, v119, s16
	v_cndmask_b32_e32 v4, 0, v4, vcc_lo
	v_sub_nc_u32_e32 v1, v1, v21
	v_add3_u32 v14, v18, v17, v4
	v_lshl_add_u32 v16, v1, 5, v19
	v_ashrrev_i32_e32 v1, 31, v16
	v_lshrrev_b32_e32 v1, 27, v1
	v_add_nc_u32_e32 v1, v16, v1
	v_ashrrev_i32_e32 v8, 5, v1
.LBB6_364:                              ;   in Loop: Header=BB6_274 Depth=3
	s_or_b32 exec_lo, exec_lo, s62
	s_and_b32 s16, s17, exec_lo
.LBB6_365:                              ;   in Loop: Header=BB6_274 Depth=3
	s_or_b32 exec_lo, exec_lo, s61
	s_and_saveexec_b32 s17, s16
	s_cbranch_execz .LBB6_374
.LBB6_366:                              ;   in Loop: Header=BB6_274 Depth=3
	v_ashrrev_i32_e32 v1, 31, v15
	s_mov_b32 s16, exec_lo
	v_lshrrev_b32_e32 v1, 22, v1
	v_add_nc_u32_e32 v1, v15, v1
	v_ashrrev_i32_e32 v19, 10, v1
	v_ashrrev_i32_e32 v1, 31, v16
	v_sub_nc_u32_e32 v17, v19, v8
	v_lshrrev_b32_e32 v18, 27, v1
	v_cmpx_lt_i32_e32 0, v17
	s_cbranch_execz .LBB6_370
; %bb.367:                              ;   in Loop: Header=BB6_274 Depth=3
	v_add_nc_u32_e32 v1, v16, v18
	s_trap 2
	ds_read_b64 v[10:11], v0
	v_lshlrev_b32_e32 v4, 10, v8
	v_add_co_u32 v5, vcc_lo, 0x3e0, v98
	v_and_b32_e32 v1, 0xffffffe0, v1
	v_add_co_ci_u32_e64 v13, null, 0, v99, vcc_lo
	s_waitcnt vmcnt(0)
	v_mov_b32_e32 v61, v58
	v_mov_b32_e32 v58, v88
	v_sub_nc_u32_e32 v1, v16, v1
	v_mov_b32_e32 v71, v118
	s_mov_b32 s61, 0
	v_add3_u32 v1, v14, v1, v4
	v_ashrrev_i32_e32 v4, 31, v1
	v_add_co_u32 v8, vcc_lo, v1, v96
	v_add_co_ci_u32_e64 v9, null, v4, v97, vcc_lo
	s_waitcnt lgkmcnt(0)
	v_add_co_u32 v10, vcc_lo, v10, v1
	v_add_co_ci_u32_e64 v11, null, v11, v4, vcc_lo
	v_add_co_u32 v12, vcc_lo, v5, v1
	v_add_co_ci_u32_e64 v13, null, v13, v4, vcc_lo
.LBB6_368:                              ;   Parent Loop BB6_47 Depth=1
                                        ;     Parent Loop BB6_271 Depth=2
                                        ;       Parent Loop BB6_274 Depth=3
                                        ; =>      This Inner Loop Header: Depth=4
	s_clause 0x1f
	flat_load_ubyte v20, v[8:9] slc
	flat_load_ubyte v21, v[8:9] offset:32 slc
	flat_load_ubyte v22, v[8:9] offset:64 slc
	;; [unrolled: 1-line block ×31, first 2 shown]
	s_clause 0x1f
	flat_load_ubyte v1, v[10:11] slc
	flat_load_ubyte v4, v[10:11] offset:32 slc
	flat_load_ubyte v5, v[10:11] offset:64 slc
	;; [unrolled: 1-line block ×31, first 2 shown]
	v_sub_nc_u32_e32 v17, v17, v119
	s_waitcnt vmcnt(31) lgkmcnt(31)
	v_mul_lo_u16 v1, v1, v20
	s_waitcnt vmcnt(30) lgkmcnt(30)
	v_mul_lo_u16 v4, v4, v21
	;; [unrolled: 2-line block ×18, first 2 shown]
	v_add_co_u32 v89, vcc_lo, 0xfffffc20, v12
	s_waitcnt vmcnt(13) lgkmcnt(13)
	v_mul_lo_u16 v96, v62, v90
	v_add_co_ci_u32_e64 v90, null, -1, v13, vcc_lo
	s_waitcnt vmcnt(12) lgkmcnt(12)
	v_mul_lo_u16 v85, v76, v91
	s_waitcnt vmcnt(11) lgkmcnt(11)
	v_mul_lo_u16 v35, v78, v92
	s_waitcnt vmcnt(10) lgkmcnt(10)
	v_mul_lo_u16 v34, v121, v93
	flat_store_byte v[89:90], v1 glc slc
	v_add_co_u32 v89, vcc_lo, 0xfffffc40, v12
	v_add_co_ci_u32_e64 v90, null, -1, v13, vcc_lo
	s_waitcnt vmcnt(9) lgkmcnt(10)
	v_mul_lo_u16 v33, v122, v94
	s_waitcnt vmcnt(8) lgkmcnt(9)
	v_mul_lo_u16 v32, v123, v95
	s_waitcnt vmcnt(7) lgkmcnt(8)
	v_mul_lo_u16 v27, v124, v104
	flat_store_byte v[89:90], v4 glc slc
	v_add_co_u32 v89, vcc_lo, 0xfffffc60, v12
	;; [unrolled: 9-line block ×4, first 2 shown]
	v_add_co_ci_u32_e64 v90, null, -1, v13, vcc_lo
	s_waitcnt vmcnt(0) lgkmcnt(4)
	v_mul_lo_u16 v21, v70, v111
	flat_store_byte v[89:90], v29 glc slc
	v_add_co_u32 v89, vcc_lo, 0xfffffcc0, v12
	v_add_co_ci_u32_e64 v90, null, -1, v13, vcc_lo
	flat_store_byte v[89:90], v30 glc slc
	v_add_co_u32 v89, vcc_lo, 0xfffffce0, v12
	v_add_co_ci_u32_e64 v90, null, -1, v13, vcc_lo
	;; [unrolled: 3-line block ×26, first 2 shown]
	v_add_co_u32 v8, vcc_lo, v8, v47
	v_add_co_ci_u32_e64 v9, null, 0, v9, vcc_lo
	v_add_co_u32 v10, vcc_lo, v10, v47
	flat_store_byte v[22:23], v20 glc slc
	flat_store_byte v[12:13], v21 glc slc
	v_add_co_ci_u32_e64 v11, null, 0, v11, vcc_lo
	v_add_co_u32 v12, vcc_lo, v12, v47
	v_add_co_ci_u32_e64 v13, null, 0, v13, vcc_lo
	v_cmp_gt_i32_e32 vcc_lo, 1, v17
	s_or_b32 s61, vcc_lo, s61
	s_andn2_b32 exec_lo, exec_lo, s61
	s_cbranch_execnz .LBB6_368
; %bb.369:                              ;   in Loop: Header=BB6_274 Depth=3
	s_or_b32 exec_lo, exec_lo, s61
	v_mov_b32_e32 v88, v58
	v_mov_b32_e32 v58, v61
	buffer_load_dword v61, off, s[0:3], s33 offset:216 ; 4-byte Folded Reload
	v_mov_b32_e32 v118, v71
	v_mov_b32_e32 v42, 0x90
	v_mov_b32_e32 v79, 0x88
.LBB6_370:                              ;   in Loop: Header=BB6_274 Depth=3
	s_or_b32 exec_lo, exec_lo, s16
	v_lshlrev_b32_e32 v8, 10, v19
	v_cmp_ne_u32_e32 vcc_lo, v15, v8
	s_and_b32 exec_lo, exec_lo, vcc_lo
	s_cbranch_execz .LBB6_374
; %bb.371:                              ;   in Loop: Header=BB6_274 Depth=3
	v_add_nc_u32_e32 v1, v16, v18
	v_lshlrev_b32_e32 v4, 5, v17
	v_and_b32_e32 v1, 0xffffffe0, v1
	v_sub_nc_u32_e32 v1, v16, v1
	v_sub_nc_u32_e32 v1, v1, v4
	v_add_nc_u32_e32 v8, v8, v1
	v_sub_nc_u32_e32 v15, v15, v8
	v_cmp_lt_i32_e32 vcc_lo, 0, v15
	s_and_b32 exec_lo, exec_lo, vcc_lo
	s_cbranch_execz .LBB6_374
; %bb.372:                              ;   in Loop: Header=BB6_274 Depth=3
	s_trap 2
	ds_read_b128 v[9:12], v0
	ds_read_b64 v[16:17], v0
	v_add_nc_u32_e32 v1, v8, v14
	s_mov_b32 s61, 0
	v_ashrrev_i32_e32 v4, 31, v1
	s_waitcnt lgkmcnt(1)
	v_add_co_u32 v8, vcc_lo, v9, v1
	v_add_co_ci_u32_e64 v9, null, v10, v4, vcc_lo
	v_add_co_u32 v10, vcc_lo, v11, v1
	v_add_co_ci_u32_e64 v11, null, v12, v4, vcc_lo
	s_waitcnt lgkmcnt(0)
	v_add_co_u32 v12, vcc_lo, v16, v1
	v_add_co_ci_u32_e64 v13, null, v17, v4, vcc_lo
	.p2align	6
.LBB6_373:                              ;   Parent Loop BB6_47 Depth=1
                                        ;     Parent Loop BB6_271 Depth=2
                                        ;       Parent Loop BB6_274 Depth=3
                                        ; =>      This Inner Loop Header: Depth=4
	flat_load_ubyte v1, v[8:9] slc
	flat_load_ubyte v4, v[10:11] slc
	v_sub_nc_u32_e32 v15, v15, v40
	v_add_co_u32 v8, vcc_lo, v8, v40
	v_add_co_ci_u32_e64 v9, null, 0, v9, vcc_lo
	v_add_co_u32 v10, vcc_lo, v10, v40
	v_add_co_ci_u32_e64 v11, null, 0, v11, vcc_lo
	v_cmp_gt_i32_e32 vcc_lo, 1, v15
	s_or_b32 s61, vcc_lo, s61
	s_waitcnt vmcnt(0) lgkmcnt(0)
	v_mul_lo_u16 v1, v4, v1
	flat_store_byte v[12:13], v1 glc slc
	v_add_co_u32 v12, s16, v12, v40
	v_add_co_ci_u32_e64 v13, null, 0, v13, s16
	s_andn2_b32 exec_lo, exec_lo, s61
	s_cbranch_execnz .LBB6_373
.LBB6_374:                              ;   in Loop: Header=BB6_274 Depth=3
	s_or_b32 exec_lo, exec_lo, s17
	v_cmp_lt_i32_e64 s16, 0, v3
	s_and_saveexec_b32 s17, s6
	s_cbranch_execz .LBB6_349
.LBB6_375:                              ;   in Loop: Header=BB6_274 Depth=3
	s_and_saveexec_b32 s61, s29
	s_xor_b32 s61, exec_lo, s61
	s_cbranch_execz .LBB6_390
; %bb.376:                              ;   in Loop: Header=BB6_274 Depth=3
	s_and_saveexec_b32 s62, s11
	s_cbranch_execz .LBB6_389
; %bb.377:                              ;   in Loop: Header=BB6_274 Depth=3
	s_mov_b32 s72, exec_lo
	s_mov_b32 s63, exec_lo
	v_mbcnt_lo_u32_b32 v1, s72, 0
	s_waitcnt vmcnt(0) lgkmcnt(0)
	s_waitcnt_vscnt null, 0x0
	buffer_gl1_inv
	buffer_gl0_inv
	v_cmpx_eq_u32_e32 0, v1
	s_cbranch_execz .LBB6_379
; %bb.378:                              ;   in Loop: Header=BB6_274 Depth=3
	s_bcnt1_i32_b32 s72, s72
	v_mov_b32_e32 v9, v2
	v_mov_b32_e32 v8, s72
	ds_add_u64 v0, v[8:9]
	s_trap 2
.LBB6_379:                              ;   in Loop: Header=BB6_274 Depth=3
	s_or_b32 exec_lo, exec_lo, s63
	s_trap 2
	ds_read_b64 v[8:9], v0
	s_waitcnt lgkmcnt(0)
	buffer_gl0_inv
	v_add_co_u32 v54, vcc_lo, v54, v119
	v_add_co_ci_u32_e64 v55, null, 0, v55, vcc_lo
	s_mov_b32 s63, exec_lo
	v_cmpx_lt_u64_e64 v[8:9], v[54:55]
	s_cbranch_execz .LBB6_388
; %bb.380:                              ;   in Loop: Header=BB6_274 Depth=3
	s_mov_b32 s72, 0
	s_mov_b32 s75, 0
                                        ; implicit-def: $sgpr73
                                        ; implicit-def: $sgpr74
	s_inst_prefetch 0x1
	s_branch .LBB6_382
	.p2align	6
.LBB6_381:                              ;   in Loop: Header=BB6_382 Depth=4
	s_or_b32 exec_lo, exec_lo, s77
	s_and_b32 s76, exec_lo, s78
	s_or_b32 s72, s76, s72
	s_andn2_b32 s73, s73, exec_lo
	s_and_b32 s76, s74, exec_lo
	s_or_b32 s73, s73, s76
	s_andn2_b32 exec_lo, exec_lo, s72
	s_cbranch_execz .LBB6_386
.LBB6_382:                              ;   Parent Loop BB6_47 Depth=1
                                        ;     Parent Loop BB6_271 Depth=2
                                        ;       Parent Loop BB6_274 Depth=3
                                        ; =>      This Inner Loop Header: Depth=4
	s_add_i32 s75, s75, 1
	s_cmpk_lg_i32 s75, 0x2710
	s_cselect_b32 s76, -1, 0
	s_and_b32 vcc_lo, exec_lo, s76
	s_cbranch_vccz .LBB6_384
; %bb.383:                              ;   in Loop: Header=BB6_382 Depth=4
	s_mov_b32 s78, -1
	s_or_b32 s74, s74, exec_lo
	s_and_saveexec_b32 s77, s76
	s_cbranch_execz .LBB6_381
	s_branch .LBB6_385
	.p2align	6
.LBB6_384:                              ;   in Loop: Header=BB6_382 Depth=4
	s_trap 2
	ds_read_b64 v[8:9], v0
	s_andn2_b32 s76, s76, exec_lo
	s_mov_b32 s75, 0
	s_waitcnt lgkmcnt(0)
	flat_load_dword v1, v[8:9] glc dlc
	s_waitcnt vmcnt(0) lgkmcnt(0)
	buffer_gl1_inv
	buffer_gl0_inv
	v_cmp_eq_u32_e32 vcc_lo, 0, v1
	s_and_b32 s77, vcc_lo, exec_lo
	s_or_b32 s76, s76, s77
	s_mov_b32 s78, -1
	s_or_b32 s74, s74, exec_lo
	s_and_saveexec_b32 s77, s76
	s_cbranch_execz .LBB6_381
.LBB6_385:                              ;   in Loop: Header=BB6_382 Depth=4
	s_sleep 1
	s_trap 2
	ds_read_b64 v[8:9], v0
	s_waitcnt lgkmcnt(0)
	buffer_gl0_inv
	s_andn2_b32 s74, s74, exec_lo
	v_cmp_ge_u64_e32 vcc_lo, v[8:9], v[54:55]
	s_orn2_b32 s78, vcc_lo, exec_lo
	s_branch .LBB6_381
.LBB6_386:                              ;   in Loop: Header=BB6_274 Depth=3
	s_inst_prefetch 0x2
	s_or_b32 exec_lo, exec_lo, s72
	s_and_saveexec_b32 s72, s73
	s_xor_b32 s72, exec_lo, s72
	s_cbranch_execz .LBB6_388
; %bb.387:                              ;   in Loop: Header=BB6_274 Depth=3
	ds_write_b32 v0, v41
	s_trap 2
.LBB6_388:                              ;   in Loop: Header=BB6_274 Depth=3
	s_or_b32 exec_lo, exec_lo, s63
	;;#ASMSTART
	s_wakeup
	;;#ASMEND
.LBB6_389:                              ;   in Loop: Header=BB6_274 Depth=3
	s_or_b32 exec_lo, exec_lo, s62
.LBB6_390:                              ;   in Loop: Header=BB6_274 Depth=3
	s_andn2_saveexec_b32 s61, s61
	s_cbranch_execz .LBB6_392
; %bb.391:                              ;   in Loop: Header=BB6_274 Depth=3
	s_waitcnt vmcnt(0) lgkmcnt(0)
	s_waitcnt_vscnt null, 0x0
	buffer_gl1_inv
	buffer_gl0_inv
	s_barrier
.LBB6_392:                              ;   in Loop: Header=BB6_274 Depth=3
	s_or_b32 exec_lo, exec_lo, s61
	s_or_b32 exec_lo, exec_lo, s17
                                        ; implicit-def: $vgpr3
	s_and_saveexec_b32 s17, s13
	s_xor_b32 s17, exec_lo, s17
	s_cbranch_execnz .LBB6_350
.LBB6_393:                              ;   in Loop: Header=BB6_274 Depth=3
	s_andn2_saveexec_b32 s16, s17
	s_cbranch_execz .LBB6_412
.LBB6_394:                              ;   in Loop: Header=BB6_274 Depth=3
	s_and_saveexec_b32 s17, s29
	s_xor_b32 s17, exec_lo, s17
	s_cbranch_execz .LBB6_409
; %bb.395:                              ;   in Loop: Header=BB6_274 Depth=3
	s_and_saveexec_b32 s61, s11
	s_cbranch_execz .LBB6_408
; %bb.396:                              ;   in Loop: Header=BB6_274 Depth=3
	s_mov_b32 s63, exec_lo
	s_mov_b32 s62, exec_lo
	v_mbcnt_lo_u32_b32 v1, s63, 0
	;;#ASMSTART
	s_waitcnt lgkmcnt(0) vmcnt(0)
	;;#ASMEND
	v_cmpx_eq_u32_e32 0, v1
	s_cbranch_execz .LBB6_398
; %bb.397:                              ;   in Loop: Header=BB6_274 Depth=3
	s_bcnt1_i32_b32 s63, s63
	v_mov_b32_e32 v9, v2
	v_mov_b32_e32 v8, s63
	s_waitcnt vmcnt(0) lgkmcnt(0)
	s_waitcnt_vscnt null, 0x0
	ds_add_u64 v0, v[8:9]
	s_trap 2
.LBB6_398:                              ;   in Loop: Header=BB6_274 Depth=3
	s_or_b32 exec_lo, exec_lo, s62
	s_trap 2
	ds_read_b64 v[8:9], v0
	s_waitcnt vmcnt(0) lgkmcnt(0)
	buffer_gl0_inv
	v_add_co_u32 v54, vcc_lo, v54, v119
	v_add_co_ci_u32_e64 v55, null, 0, v55, vcc_lo
	s_mov_b32 s62, exec_lo
	v_cmpx_lt_u64_e64 v[8:9], v[54:55]
	s_cbranch_execz .LBB6_407
; %bb.399:                              ;   in Loop: Header=BB6_274 Depth=3
	s_mov_b32 s63, 0
	s_mov_b32 s74, 0
                                        ; implicit-def: $sgpr72
                                        ; implicit-def: $sgpr73
	s_inst_prefetch 0x1
	s_branch .LBB6_401
	.p2align	6
.LBB6_400:                              ;   in Loop: Header=BB6_401 Depth=4
	s_or_b32 exec_lo, exec_lo, s76
	s_and_b32 s75, exec_lo, s77
	s_or_b32 s63, s75, s63
	s_andn2_b32 s72, s72, exec_lo
	s_and_b32 s75, s73, exec_lo
	s_or_b32 s72, s72, s75
	s_andn2_b32 exec_lo, exec_lo, s63
	s_cbranch_execz .LBB6_405
.LBB6_401:                              ;   Parent Loop BB6_47 Depth=1
                                        ;     Parent Loop BB6_271 Depth=2
                                        ;       Parent Loop BB6_274 Depth=3
                                        ; =>      This Inner Loop Header: Depth=4
	s_add_i32 s74, s74, 1
	s_cmpk_lg_i32 s74, 0x2710
	s_cselect_b32 s75, -1, 0
	s_and_b32 vcc_lo, exec_lo, s75
	s_cbranch_vccz .LBB6_403
; %bb.402:                              ;   in Loop: Header=BB6_401 Depth=4
	s_mov_b32 s77, -1
	s_or_b32 s73, s73, exec_lo
	s_and_saveexec_b32 s76, s75
	s_cbranch_execz .LBB6_400
	s_branch .LBB6_404
	.p2align	6
.LBB6_403:                              ;   in Loop: Header=BB6_401 Depth=4
	s_trap 2
	ds_read_b64 v[8:9], v0
	s_andn2_b32 s75, s75, exec_lo
	s_mov_b32 s74, 0
	s_waitcnt lgkmcnt(0)
	s_waitcnt_vscnt null, 0x0
	flat_load_dword v1, v[8:9] glc dlc
	s_waitcnt vmcnt(0) lgkmcnt(0)
	buffer_gl1_inv
	buffer_gl0_inv
	v_cmp_eq_u32_e32 vcc_lo, 0, v1
	s_and_b32 s76, vcc_lo, exec_lo
	s_or_b32 s75, s75, s76
	s_mov_b32 s77, -1
	s_or_b32 s73, s73, exec_lo
	s_and_saveexec_b32 s76, s75
	s_cbranch_execz .LBB6_400
.LBB6_404:                              ;   in Loop: Header=BB6_401 Depth=4
	s_sleep 1
	s_trap 2
	ds_read_b64 v[8:9], v0
	s_waitcnt lgkmcnt(0)
	buffer_gl0_inv
	s_andn2_b32 s73, s73, exec_lo
	v_cmp_ge_u64_e32 vcc_lo, v[8:9], v[54:55]
	s_orn2_b32 s77, vcc_lo, exec_lo
	s_branch .LBB6_400
.LBB6_405:                              ;   in Loop: Header=BB6_274 Depth=3
	s_inst_prefetch 0x2
	s_or_b32 exec_lo, exec_lo, s63
	s_and_saveexec_b32 s63, s72
	s_xor_b32 s63, exec_lo, s63
	s_cbranch_execz .LBB6_407
; %bb.406:                              ;   in Loop: Header=BB6_274 Depth=3
	ds_write_b32 v0, v41
	s_trap 2
.LBB6_407:                              ;   in Loop: Header=BB6_274 Depth=3
	s_or_b32 exec_lo, exec_lo, s62
	;;#ASMSTART
	s_wakeup
	;;#ASMEND
.LBB6_408:                              ;   in Loop: Header=BB6_274 Depth=3
	s_or_b32 exec_lo, exec_lo, s61
.LBB6_409:                              ;   in Loop: Header=BB6_274 Depth=3
	s_andn2_saveexec_b32 s17, s17
	s_cbranch_execz .LBB6_411
; %bb.410:                              ;   in Loop: Header=BB6_274 Depth=3
	;;#ASMSTART
	s_waitcnt lgkmcnt(0) vmcnt(0)
	;;#ASMEND
	s_barrier
.LBB6_411:                              ;   in Loop: Header=BB6_274 Depth=3
	s_or_b32 exec_lo, exec_lo, s17
	v_and_b32_e32 v3, 16, v116
.LBB6_412:                              ;   in Loop: Header=BB6_274 Depth=3
	s_or_b32 exec_lo, exec_lo, s16
	v_cmp_ne_u32_e32 vcc_lo, 0, v3
	s_xor_b32 s16, s7, -1
	s_and_b32 s17, vcc_lo, s16
	s_and_saveexec_b32 s16, s17
	s_cbranch_execz .LBB6_414
; %bb.413:                              ;   in Loop: Header=BB6_274 Depth=3
	s_waitcnt vmcnt(0) lgkmcnt(0)
	s_waitcnt_vscnt null, 0x0
	flat_store_dword v[52:53], v41
.LBB6_414:                              ;   in Loop: Header=BB6_274 Depth=3
	s_or_b32 exec_lo, exec_lo, s16
	v_and_b32_e32 v1, 48, v116
	s_mov_b32 s16, exec_lo
	v_cmpx_ne_u32_e32 0, v1
	s_cbranch_execz .LBB6_273
; %bb.415:                              ;   in Loop: Header=BB6_274 Depth=3
	v_add_co_u32 v80, vcc_lo, v80, 2
	v_add_co_ci_u32_e64 v81, null, 0, v81, vcc_lo
	s_waitcnt vmcnt(0) lgkmcnt(0)
	s_waitcnt_vscnt null, 0x0
	flat_store_dwordx2 v[48:49], v[80:81]
	s_branch .LBB6_273
.LBB6_416:                              ;   in Loop: Header=BB6_271 Depth=2
	s_or_b32 exec_lo, exec_lo, s21
.LBB6_417:                              ;   in Loop: Header=BB6_271 Depth=2
	s_or_b32 exec_lo, exec_lo, s19
	s_mov_b32 s17, exec_lo
	v_cmpx_gt_i32_e32 2, v3
	s_cbranch_execz .LBB6_270
; %bb.418:                              ;   in Loop: Header=BB6_271 Depth=2
	v_cmp_eq_u32_e64 s21, 0, v3
	s_mov_b32 s19, 0
	s_branch .LBB6_420
.LBB6_419:                              ;   in Loop: Header=BB6_420 Depth=3
	s_or_b32 exec_lo, exec_lo, s16
	v_add_nc_u32_e32 v115, v84, v115
	s_mov_b32 s21, 0
	s_andn2_b32 exec_lo, exec_lo, s19
	s_cbranch_execz .LBB6_269
.LBB6_420:                              ;   Parent Loop BB6_47 Depth=1
                                        ;     Parent Loop BB6_271 Depth=2
                                        ; =>    This Loop Header: Depth=3
                                        ;         Child Loop BB6_426 Depth 4
                                        ;         Child Loop BB6_454 Depth 4
	;; [unrolled: 1-line block ×3, first 2 shown]
	v_sub_nc_u32_e32 v1, v114, v115
	v_and_b32_e32 v3, 12, v116
	s_mov_b32 s22, exec_lo
	v_min_i32_e32 v84, v84, v1
	v_cmpx_ne_u32_e32 0, v3
	s_cbranch_execz .LBB6_446
; %bb.421:                              ;   in Loop: Header=BB6_420 Depth=3
	v_and_b32_e32 v3, 8, v116
	s_mov_b32 s23, exec_lo
	s_waitcnt vmcnt(0) lgkmcnt(1)
	v_add_co_u32 v10, vcc_lo, v64, v3
	v_add_co_ci_u32_e64 v11, null, 0, v65, vcc_lo
	v_add_co_u32 v8, vcc_lo, v80, 2
	v_add_co_ci_u32_e64 v9, null, 0, v81, vcc_lo
	v_cmpx_lt_u64_e64 v[10:11], v[8:9]
	s_cbranch_execz .LBB6_433
; %bb.422:                              ;   in Loop: Header=BB6_420 Depth=3
	v_and_b32_e32 v1, 64, v116
	s_mov_b32 s61, 0
	s_mov_b32 s73, 0
                                        ; implicit-def: $sgpr62
                                        ; implicit-def: $sgpr63
                                        ; implicit-def: $sgpr72
	v_cmp_eq_u32_e32 vcc_lo, 0, v1
	s_branch .LBB6_426
.LBB6_423:                              ;   in Loop: Header=BB6_426 Depth=4
	s_waitcnt vmcnt(0) lgkmcnt(0)
	v_add_co_u32 v11, s16, v64, v3
	v_add_co_ci_u32_e64 v12, null, 0, v65, s16
	s_or_b32 s76, s76, exec_lo
	v_cmp_ge_u64_e64 s16, v[11:12], v[8:9]
	s_orn2_b32 s75, s16, exec_lo
.LBB6_424:                              ;   in Loop: Header=BB6_426 Depth=4
	s_or_b32 exec_lo, exec_lo, s78
	s_andn2_b32 s16, s72, exec_lo
	s_and_b32 s72, s76, exec_lo
	s_andn2_b32 s63, s63, exec_lo
	s_and_b32 s75, s75, exec_lo
	s_or_b32 s72, s16, s72
	s_or_b32 s63, s63, s75
.LBB6_425:                              ;   in Loop: Header=BB6_426 Depth=4
	s_or_b32 exec_lo, exec_lo, s74
	s_and_b32 s16, exec_lo, s63
	s_or_b32 s61, s16, s61
	s_andn2_b32 s16, s62, exec_lo
	s_and_b32 s62, s72, exec_lo
	s_or_b32 s62, s16, s62
	s_andn2_b32 exec_lo, exec_lo, s61
	s_cbranch_execz .LBB6_430
.LBB6_426:                              ;   Parent Loop BB6_47 Depth=1
                                        ;     Parent Loop BB6_271 Depth=2
                                        ;       Parent Loop BB6_420 Depth=3
                                        ; =>      This Inner Loop Header: Depth=4
	s_sleep 1
	s_waitcnt vmcnt(0) lgkmcnt(0)
	flat_load_dwordx2 v[64:65], v[48:49] glc dlc
	s_or_b32 s72, s72, exec_lo
	s_or_b32 s63, s63, exec_lo
                                        ; implicit-def: $vgpr10
	s_and_saveexec_b32 s74, vcc_lo
	s_cbranch_execz .LBB6_425
; %bb.427:                              ;   in Loop: Header=BB6_426 Depth=4
	s_cmpk_lt_i32 s73, 0x270f
	s_mov_b32 s75, -1
	s_cselect_b32 s77, -1, 0
	s_cmpk_gt_i32 s73, 0x270e
	s_cbranch_scc0 .LBB6_429
; %bb.428:                              ;   in Loop: Header=BB6_426 Depth=4
	s_trap 2
	ds_read_b64 v[10:11], v0
	s_andn2_b32 s73, s77, exec_lo
	s_mov_b32 s76, 0
	s_waitcnt vmcnt(0) lgkmcnt(0)
	s_waitcnt_vscnt null, 0x0
	flat_load_dword v10, v[10:11] glc dlc
	s_waitcnt vmcnt(0) lgkmcnt(0)
	buffer_gl1_inv
	buffer_gl0_inv
	v_cmp_eq_u32_e64 s16, 0, v10
	s_and_b32 s16, s16, exec_lo
	s_or_b32 s77, s73, s16
	s_mov_b32 s73, 0
	s_and_saveexec_b32 s78, s77
	s_cbranch_execz .LBB6_424
	s_branch .LBB6_423
.LBB6_429:                              ;   in Loop: Header=BB6_426 Depth=4
	s_add_i32 s73, s73, 1
	s_mov_b32 s76, -1
                                        ; implicit-def: $vgpr10
	s_and_saveexec_b32 s78, s77
	s_cbranch_execz .LBB6_424
	s_branch .LBB6_423
.LBB6_430:                              ;   in Loop: Header=BB6_420 Depth=3
	s_or_b32 exec_lo, exec_lo, s61
	s_xor_b32 s16, s62, -1
	s_and_saveexec_b32 s61, s16
	s_xor_b32 s16, exec_lo, s61
	s_cbranch_execz .LBB6_432
; %bb.431:                              ;   in Loop: Header=BB6_420 Depth=3
	v_or_b32_e32 v116, 64, v116
	s_waitcnt vmcnt(0) lgkmcnt(0)
	s_waitcnt_vscnt null, 0x0
	ds_write_b32 v0, v10
	s_trap 2
.LBB6_432:                              ;   in Loop: Header=BB6_420 Depth=3
	s_or_b32 exec_lo, exec_lo, s16
.LBB6_433:                              ;   in Loop: Header=BB6_420 Depth=3
	s_or_b32 exec_lo, exec_lo, s23
	v_and_b32_e32 v1, 0x108, v116
	s_mov_b32 s16, exec_lo
	;;#ASMSTART
	s_wakeup
	;;#ASMEND
                                        ; implicit-def: $vgpr10_vgpr11
	v_cmpx_ne_u32_e32 0x108, v1
	s_xor_b32 s16, exec_lo, s16
; %bb.434:                              ;   in Loop: Header=BB6_420 Depth=3
	v_and_b32_e32 v10, 7, v80
	v_mov_b32_e32 v11, v2
                                        ; implicit-def: $vgpr80_vgpr81
; %bb.435:                              ;   in Loop: Header=BB6_420 Depth=3
	s_andn2_saveexec_b32 s16, s16
	s_cbranch_execz .LBB6_437
; %bb.436:                              ;   in Loop: Header=BB6_420 Depth=3
	v_and_b32_e32 v10, 7, v80
	v_ashrrev_i32_e32 v85, 31, v84
	v_mov_b32_e32 v11, v2
	v_mad_u64_u32 v[12:13], null, v10, 24, v[6:7]
	flat_store_dwordx2 v[12:13], v[84:85] offset:8
.LBB6_437:                              ;   in Loop: Header=BB6_420 Depth=3
	s_or_b32 exec_lo, exec_lo, s16
	v_and_b32_e32 v1, 0x100, v116
	s_mov_b32 s16, -1
	s_mov_b32 s23, exec_lo
                                        ; implicit-def: $vgpr12_vgpr13
	v_cmpx_ne_u32_e32 0, v1
	s_cbranch_execz .LBB6_441
; %bb.438:                              ;   in Loop: Header=BB6_420 Depth=3
	v_mad_u64_u32 v[14:15], null, v10, 24, v[6:7]
	s_mov_b32 s61, exec_lo
	v_mov_b32_e32 v12, v15
	v_mad_u64_u32 v[12:13], null, v11, 24, v[12:13]
	v_mov_b32_e32 v15, v12
                                        ; implicit-def: $vgpr12_vgpr13
	flat_load_dword v1, v[14:15]
	s_waitcnt vmcnt(0) lgkmcnt(0)
	v_cmp_ne_u32_e32 vcc_lo, 1, v1
	v_cmpx_eq_u32_e32 1, v1
	s_cbranch_execz .LBB6_440
; %bb.439:                              ;   in Loop: Header=BB6_420 Depth=3
	flat_load_dword v12, v[14:15] offset:4 glc dlc
	s_waitcnt vmcnt(0) lgkmcnt(0)
	v_ashrrev_i32_e32 v13, 31, v12
.LBB6_440:                              ;   in Loop: Header=BB6_420 Depth=3
	s_or_b32 exec_lo, exec_lo, s61
	s_orn2_b32 s16, vcc_lo, exec_lo
.LBB6_441:                              ;   in Loop: Header=BB6_420 Depth=3
	s_or_b32 exec_lo, exec_lo, s23
	s_and_saveexec_b32 s23, s16
; %bb.442:                              ;   in Loop: Header=BB6_420 Depth=3
	v_mul_lo_u32 v1, v11, v117
	v_mul_lo_u32 v4, v10, v118
	v_mad_u64_u32 v[12:13], null, v10, v117, 0
	v_add3_u32 v13, v13, v4, v1
; %bb.443:                              ;   in Loop: Header=BB6_420 Depth=3
	s_or_b32 exec_lo, exec_lo, s23
	v_cmp_eq_u32_e32 vcc_lo, 0, v3
	v_and_b32_e32 v3, 0x2000, v116
	s_mov_b32 s16, exec_lo
	v_cndmask_b32_e32 v1, 0xc8, v42, vcc_lo
	v_add_co_u32 v10, vcc_lo, v50, v12
	v_add_co_ci_u32_e64 v11, null, v51, v13, vcc_lo
	v_add_nc_u32_e32 v1, v0, v1
	ds_write_b64 v1, v[10:11] offset:584
	v_cmpx_ne_u32_e32 0, v3
	s_cbranch_execz .LBB6_445
; %bb.444:                              ;   in Loop: Header=BB6_420 Depth=3
	ds_read_b64 v[10:11], v0 offset:872
	s_waitcnt lgkmcnt(0)
	v_add_co_u32 v10, vcc_lo, v10, 1
	v_add_co_ci_u32_e64 v11, null, 0, v11, vcc_lo
	ds_write_b64 v0, v[10:11] offset:872
.LBB6_445:                              ;   in Loop: Header=BB6_420 Depth=3
	s_or_b32 exec_lo, exec_lo, s16
	v_mov_b32_e32 v81, v9
	v_mov_b32_e32 v80, v8
.LBB6_446:                              ;   in Loop: Header=BB6_420 Depth=3
	s_or_b32 exec_lo, exec_lo, s22
	s_xor_b32 s16, s21, -1
	s_and_b32 s16, exec_lo, s16
	s_or_b32 s19, s16, s19
	s_and_saveexec_b32 s16, s6
	s_cbranch_execz .LBB6_465
; %bb.447:                              ;   in Loop: Header=BB6_420 Depth=3
	s_and_saveexec_b32 s21, s29
	s_xor_b32 s21, exec_lo, s21
	s_cbranch_execz .LBB6_462
; %bb.448:                              ;   in Loop: Header=BB6_420 Depth=3
	s_and_saveexec_b32 s22, s11
	s_cbranch_execz .LBB6_461
; %bb.449:                              ;   in Loop: Header=BB6_420 Depth=3
	s_mov_b32 s61, exec_lo
	s_mov_b32 s23, exec_lo
	v_mbcnt_lo_u32_b32 v1, s61, 0
	s_waitcnt vmcnt(0) lgkmcnt(0)
	s_waitcnt_vscnt null, 0x0
	buffer_gl1_inv
	buffer_gl0_inv
	v_cmpx_eq_u32_e32 0, v1
	s_cbranch_execz .LBB6_451
; %bb.450:                              ;   in Loop: Header=BB6_420 Depth=3
	s_bcnt1_i32_b32 s61, s61
	v_mov_b32_e32 v9, v2
	v_mov_b32_e32 v8, s61
	ds_add_u64 v0, v[8:9]
	s_trap 2
.LBB6_451:                              ;   in Loop: Header=BB6_420 Depth=3
	s_or_b32 exec_lo, exec_lo, s23
	s_trap 2
	ds_read_b64 v[8:9], v0
	s_waitcnt lgkmcnt(0)
	buffer_gl0_inv
	v_add_co_u32 v54, vcc_lo, v54, v119
	v_add_co_ci_u32_e64 v55, null, 0, v55, vcc_lo
	s_mov_b32 s23, exec_lo
	v_cmpx_lt_u64_e64 v[8:9], v[54:55]
	s_cbranch_execz .LBB6_460
; %bb.452:                              ;   in Loop: Header=BB6_420 Depth=3
	s_mov_b32 s61, 0
	s_mov_b32 s72, 0
                                        ; implicit-def: $sgpr62
                                        ; implicit-def: $sgpr63
	s_inst_prefetch 0x1
	s_branch .LBB6_454
	.p2align	6
.LBB6_453:                              ;   in Loop: Header=BB6_454 Depth=4
	s_or_b32 exec_lo, exec_lo, s74
	s_and_b32 s73, exec_lo, s75
	s_or_b32 s61, s73, s61
	s_andn2_b32 s62, s62, exec_lo
	s_and_b32 s73, s63, exec_lo
	s_or_b32 s62, s62, s73
	s_andn2_b32 exec_lo, exec_lo, s61
	s_cbranch_execz .LBB6_458
.LBB6_454:                              ;   Parent Loop BB6_47 Depth=1
                                        ;     Parent Loop BB6_271 Depth=2
                                        ;       Parent Loop BB6_420 Depth=3
                                        ; =>      This Inner Loop Header: Depth=4
	s_add_i32 s72, s72, 1
	s_cmpk_lg_i32 s72, 0x2710
	s_cselect_b32 s73, -1, 0
	s_and_b32 vcc_lo, exec_lo, s73
	s_cbranch_vccz .LBB6_456
; %bb.455:                              ;   in Loop: Header=BB6_454 Depth=4
	s_mov_b32 s75, -1
	s_or_b32 s63, s63, exec_lo
	s_and_saveexec_b32 s74, s73
	s_cbranch_execz .LBB6_453
	s_branch .LBB6_457
	.p2align	6
.LBB6_456:                              ;   in Loop: Header=BB6_454 Depth=4
	s_trap 2
	ds_read_b64 v[8:9], v0
	s_andn2_b32 s73, s73, exec_lo
	s_mov_b32 s72, 0
	s_waitcnt lgkmcnt(0)
	flat_load_dword v1, v[8:9] glc dlc
	s_waitcnt vmcnt(0) lgkmcnt(0)
	buffer_gl1_inv
	buffer_gl0_inv
	v_cmp_eq_u32_e32 vcc_lo, 0, v1
	s_and_b32 s74, vcc_lo, exec_lo
	s_or_b32 s73, s73, s74
	s_mov_b32 s75, -1
	s_or_b32 s63, s63, exec_lo
	s_and_saveexec_b32 s74, s73
	s_cbranch_execz .LBB6_453
.LBB6_457:                              ;   in Loop: Header=BB6_454 Depth=4
	s_sleep 1
	s_trap 2
	ds_read_b64 v[8:9], v0
	s_waitcnt lgkmcnt(0)
	buffer_gl0_inv
	s_andn2_b32 s63, s63, exec_lo
	v_cmp_ge_u64_e32 vcc_lo, v[8:9], v[54:55]
	s_orn2_b32 s75, vcc_lo, exec_lo
	s_branch .LBB6_453
.LBB6_458:                              ;   in Loop: Header=BB6_420 Depth=3
	s_inst_prefetch 0x2
	s_or_b32 exec_lo, exec_lo, s61
	s_and_saveexec_b32 s61, s62
	s_xor_b32 s61, exec_lo, s61
	s_cbranch_execz .LBB6_460
; %bb.459:                              ;   in Loop: Header=BB6_420 Depth=3
	ds_write_b32 v0, v41
	s_trap 2
.LBB6_460:                              ;   in Loop: Header=BB6_420 Depth=3
	s_or_b32 exec_lo, exec_lo, s23
	;;#ASMSTART
	s_wakeup
	;;#ASMEND
.LBB6_461:                              ;   in Loop: Header=BB6_420 Depth=3
	s_or_b32 exec_lo, exec_lo, s22
.LBB6_462:                              ;   in Loop: Header=BB6_420 Depth=3
	s_andn2_saveexec_b32 s21, s21
	s_cbranch_execz .LBB6_464
; %bb.463:                              ;   in Loop: Header=BB6_420 Depth=3
	s_waitcnt vmcnt(0) lgkmcnt(0)
	s_waitcnt_vscnt null, 0x0
	buffer_gl1_inv
	buffer_gl0_inv
	s_barrier
.LBB6_464:                              ;   in Loop: Header=BB6_420 Depth=3
	s_or_b32 exec_lo, exec_lo, s21
.LBB6_465:                              ;   in Loop: Header=BB6_420 Depth=3
	s_or_b32 exec_lo, exec_lo, s16
                                        ; implicit-def: $vgpr3
	s_and_saveexec_b32 s16, s47
	s_xor_b32 s16, exec_lo, s16
	s_cbranch_execz .LBB6_477
; %bb.466:                              ;   in Loop: Header=BB6_420 Depth=3
	s_and_saveexec_b32 s21, s29
	s_xor_b32 s21, exec_lo, s21
	s_cbranch_execz .LBB6_482
; %bb.467:                              ;   in Loop: Header=BB6_420 Depth=3
	s_and_saveexec_b32 s22, s11
	s_cbranch_execz .LBB6_481
; %bb.468:                              ;   in Loop: Header=BB6_420 Depth=3
	s_mov_b32 s61, exec_lo
	s_mov_b32 s23, exec_lo
	v_mbcnt_lo_u32_b32 v1, s61, 0
	;;#ASMSTART
	s_waitcnt lgkmcnt(0) vmcnt(0)
	;;#ASMEND
	v_cmpx_eq_u32_e32 0, v1
	s_cbranch_execz .LBB6_470
; %bb.469:                              ;   in Loop: Header=BB6_420 Depth=3
	s_bcnt1_i32_b32 s61, s61
	v_mov_b32_e32 v9, v2
	v_mov_b32_e32 v8, s61
	s_waitcnt vmcnt(0) lgkmcnt(0)
	s_waitcnt_vscnt null, 0x0
	ds_add_u64 v0, v[8:9]
	s_trap 2
.LBB6_470:                              ;   in Loop: Header=BB6_420 Depth=3
	s_or_b32 exec_lo, exec_lo, s23
	s_trap 2
	ds_read_b64 v[8:9], v0
	s_waitcnt vmcnt(0) lgkmcnt(0)
	buffer_gl0_inv
	v_add_co_u32 v54, vcc_lo, v54, v119
	v_add_co_ci_u32_e64 v55, null, 0, v55, vcc_lo
	s_mov_b32 s23, exec_lo
	v_cmpx_lt_u64_e64 v[8:9], v[54:55]
	s_cbranch_execz .LBB6_480
; %bb.471:                              ;   in Loop: Header=BB6_420 Depth=3
	s_mov_b32 s61, 0
	s_mov_b32 s72, 0
                                        ; implicit-def: $sgpr62
                                        ; implicit-def: $sgpr63
	s_inst_prefetch 0x1
	s_branch .LBB6_473
	.p2align	6
.LBB6_472:                              ;   in Loop: Header=BB6_473 Depth=4
	s_or_b32 exec_lo, exec_lo, s74
	s_and_b32 s73, exec_lo, s75
	s_or_b32 s61, s73, s61
	s_andn2_b32 s62, s62, exec_lo
	s_and_b32 s73, s63, exec_lo
	s_or_b32 s62, s62, s73
	s_andn2_b32 exec_lo, exec_lo, s61
	s_cbranch_execz .LBB6_478
.LBB6_473:                              ;   Parent Loop BB6_47 Depth=1
                                        ;     Parent Loop BB6_271 Depth=2
                                        ;       Parent Loop BB6_420 Depth=3
                                        ; =>      This Inner Loop Header: Depth=4
	s_add_i32 s72, s72, 1
	s_cmpk_lg_i32 s72, 0x2710
	s_cselect_b32 s73, -1, 0
	s_and_b32 vcc_lo, exec_lo, s73
	s_cbranch_vccz .LBB6_475
; %bb.474:                              ;   in Loop: Header=BB6_473 Depth=4
	s_mov_b32 s75, -1
	s_or_b32 s63, s63, exec_lo
	s_and_saveexec_b32 s74, s73
	s_cbranch_execz .LBB6_472
	s_branch .LBB6_476
	.p2align	6
.LBB6_475:                              ;   in Loop: Header=BB6_473 Depth=4
	s_trap 2
	ds_read_b64 v[8:9], v0
	s_andn2_b32 s73, s73, exec_lo
	s_mov_b32 s72, 0
	s_waitcnt lgkmcnt(0)
	s_waitcnt_vscnt null, 0x0
	flat_load_dword v1, v[8:9] glc dlc
	s_waitcnt vmcnt(0) lgkmcnt(0)
	buffer_gl1_inv
	buffer_gl0_inv
	v_cmp_eq_u32_e32 vcc_lo, 0, v1
	s_and_b32 s74, vcc_lo, exec_lo
	s_or_b32 s73, s73, s74
	s_mov_b32 s75, -1
	s_or_b32 s63, s63, exec_lo
	s_and_saveexec_b32 s74, s73
	s_cbranch_execz .LBB6_472
.LBB6_476:                              ;   in Loop: Header=BB6_473 Depth=4
	s_sleep 1
	s_trap 2
	ds_read_b64 v[8:9], v0
	s_waitcnt lgkmcnt(0)
	buffer_gl0_inv
	s_andn2_b32 s63, s63, exec_lo
	v_cmp_ge_u64_e32 vcc_lo, v[8:9], v[54:55]
	s_orn2_b32 s75, vcc_lo, exec_lo
	s_branch .LBB6_472
.LBB6_477:                              ;   in Loop: Header=BB6_420 Depth=3
	s_andn2_saveexec_b32 s21, s16
	s_cbranch_execnz .LBB6_485
	s_branch .LBB6_488
.LBB6_478:                              ;   in Loop: Header=BB6_420 Depth=3
	s_inst_prefetch 0x2
	s_or_b32 exec_lo, exec_lo, s61
	s_and_saveexec_b32 s61, s62
	s_xor_b32 s61, exec_lo, s61
	s_cbranch_execz .LBB6_480
; %bb.479:                              ;   in Loop: Header=BB6_420 Depth=3
	ds_write_b32 v0, v41
	s_trap 2
.LBB6_480:                              ;   in Loop: Header=BB6_420 Depth=3
	s_or_b32 exec_lo, exec_lo, s23
	;;#ASMSTART
	s_wakeup
	;;#ASMEND
.LBB6_481:                              ;   in Loop: Header=BB6_420 Depth=3
	s_or_b32 exec_lo, exec_lo, s22
.LBB6_482:                              ;   in Loop: Header=BB6_420 Depth=3
	s_andn2_saveexec_b32 s21, s21
	s_cbranch_execz .LBB6_484
; %bb.483:                              ;   in Loop: Header=BB6_420 Depth=3
	;;#ASMSTART
	s_waitcnt lgkmcnt(0) vmcnt(0)
	;;#ASMEND
	s_barrier
.LBB6_484:                              ;   in Loop: Header=BB6_420 Depth=3
	s_or_b32 exec_lo, exec_lo, s21
	v_and_b32_e32 v3, 16, v116
	s_andn2_saveexec_b32 s21, s16
	s_cbranch_execz .LBB6_488
.LBB6_485:                              ;   in Loop: Header=BB6_420 Depth=3
	s_trap 2
	ds_read_b32 v1, v0
	v_cmp_lt_i32_e32 vcc_lo, 0, v84
	v_and_b32_e32 v3, 16, v116
	s_waitcnt lgkmcnt(0)
	v_readfirstlane_b32 s16, v1
	v_and_b32_e32 v1, 16, v116
	s_cmp_eq_u32 s16, 0
	v_cmp_ne_u32_e64 s16, 0, v1
	s_cselect_b32 s22, -1, 0
	s_and_b32 s22, vcc_lo, s22
	s_and_b32 s22, s16, s22
	s_and_saveexec_b32 s16, s22
	s_cbranch_execz .LBB6_487
; %bb.486:                              ;   in Loop: Header=BB6_420 Depth=3
	v_mov_b32_e32 v3, 1
	s_waitcnt vmcnt(0)
	s_waitcnt_vscnt null, 0x0
	buffer_gl1_inv
	buffer_gl0_inv
.LBB6_487:                              ;   in Loop: Header=BB6_420 Depth=3
	s_or_b32 exec_lo, exec_lo, s16
.LBB6_488:                              ;   in Loop: Header=BB6_420 Depth=3
	s_or_b32 exec_lo, exec_lo, s21
	v_cmp_ne_u32_e32 vcc_lo, 0, v3
	s_xor_b32 s16, s7, -1
	s_and_b32 s21, vcc_lo, s16
	s_and_saveexec_b32 s16, s21
	s_cbranch_execz .LBB6_490
; %bb.489:                              ;   in Loop: Header=BB6_420 Depth=3
	s_waitcnt vmcnt(0) lgkmcnt(0)
	s_waitcnt_vscnt null, 0x0
	flat_store_dword v[52:53], v41
.LBB6_490:                              ;   in Loop: Header=BB6_420 Depth=3
	s_or_b32 exec_lo, exec_lo, s16
	v_and_b32_e32 v1, 48, v116
	s_mov_b32 s16, exec_lo
	v_cmpx_ne_u32_e32 0, v1
	s_cbranch_execz .LBB6_419
; %bb.491:                              ;   in Loop: Header=BB6_420 Depth=3
	v_add_co_u32 v80, vcc_lo, v80, 2
	v_add_co_ci_u32_e64 v81, null, 0, v81, vcc_lo
	s_waitcnt vmcnt(0) lgkmcnt(0)
	s_waitcnt_vscnt null, 0x0
	flat_store_dwordx2 v[48:49], v[80:81]
	s_branch .LBB6_419
.LBB6_492:                              ;   in Loop: Header=BB6_47 Depth=1
	s_clause 0x1
	buffer_load_dword v114, off, s[0:3], s33 offset:220
	buffer_load_dword v115, off, s[0:3], s33 offset:224
.LBB6_493:                              ;   in Loop: Header=BB6_47 Depth=1
	s_clause 0x1
	buffer_load_dword v4, off, s[0:3], s33 offset:200
	buffer_load_dword v5, off, s[0:3], s33 offset:204
	v_mov_b32_e32 v87, 0
	s_waitcnt vmcnt(1)
	v_mul_lo_u32 v10, v4, s28
	s_waitcnt vmcnt(0)
	v_mul_lo_u32 v3, v5, s25
	v_mad_u64_u32 v[8:9], null, v4, s25, 0
	v_add3_u32 v9, v9, v10, v3
	s_clause 0x1
	buffer_load_dword v10, off, s[0:3], s33 offset:192
	buffer_load_dword v11, off, s[0:3], s33 offset:196
	s_waitcnt vmcnt(1)
	v_sub_co_u32 v10, vcc_lo, v10, v8
	s_waitcnt vmcnt(0)
	v_sub_co_ci_u32_e64 v11, null, v11, v9, vcc_lo
	v_cmp_lt_i64_e32 vcc_lo, v[4:5], v[10:11]
	v_cndmask_b32_e32 v11, v10, v4, vcc_lo
	v_max_i32_e32 v3, 0, v11
	v_cmp_lt_i32_e32 vcc_lo, 0, v11
	v_add_nc_u32_e32 v10, 31, v3
	s_and_b32 s16, s57, vcc_lo
	v_lshrrev_b32_e32 v10, 1, v10
	v_and_b32_e32 v12, 0x3ffffff0, v10
	v_mov_b32_e32 v10, 0
	v_max_i32_e32 v84, s45, v12
	s_and_saveexec_b32 s21, s16
	s_cbranch_execz .LBB6_674
; %bb.494:                              ;   in Loop: Header=BB6_47 Depth=1
	v_add_co_u32 v70, vcc_lo, v8, v88
	v_add_co_ci_u32_e64 v71, null, v9, v58, vcc_lo
	v_mov_b32_e32 v87, 0
	s_mov_b32 s63, 1
	s_mov_b32 s62, -1
	s_mov_b32 s61, 0
	s_branch .LBB6_496
.LBB6_495:                              ;   in Loop: Header=BB6_496 Depth=2
	s_or_b32 exec_lo, exec_lo, s16
	v_add_nc_u32_e32 v87, v84, v87
	s_xor_b32 s16, s62, -1
	v_mov_b32_e32 v10, s63
	s_mov_b32 s62, 0
	s_mov_b32 s63, 2
	v_cmp_ge_i32_e32 vcc_lo, v87, v3
	s_or_b32 s16, s16, vcc_lo
	s_and_b32 s16, exec_lo, s16
	s_or_b32 s61, s16, s61
	s_andn2_b32 exec_lo, exec_lo, s61
	s_cbranch_execz .LBB6_673
.LBB6_496:                              ;   Parent Loop BB6_47 Depth=1
                                        ; =>  This Loop Header: Depth=2
                                        ;       Child Loop BB6_504 Depth 3
                                        ;       Child Loop BB6_532 Depth 3
	;; [unrolled: 1-line block ×5, first 2 shown]
                                        ;         Child Loop BB6_584 Depth 4
                                        ;       Child Loop BB6_593 Depth 3
                                        ;       Child Loop BB6_598 Depth 3
                                        ;         Child Loop BB6_599 Depth 4
                                        ;       Child Loop BB6_611 Depth 3
                                        ;       Child Loop BB6_616 Depth 3
	;; [unrolled: 1-line block ×6, first 2 shown]
	s_and_saveexec_b32 s17, s4
	s_cbranch_execz .LBB6_498
; %bb.497:                              ;   in Loop: Header=BB6_496 Depth=2
	s_trap 2
	ds_read2_b64 v[8:11], v0 offset1:1
	ds_read_b64 v[12:13], v0
	v_ashrrev_i32_e32 v14, 31, v87
	s_waitcnt lgkmcnt(1)
	v_add_co_u32 v8, vcc_lo, v8, v70
	v_add_co_ci_u32_e64 v9, null, v9, v71, vcc_lo
	v_add_co_u32 v10, vcc_lo, v10, v70
	v_add_co_ci_u32_e64 v11, null, v11, v71, vcc_lo
	s_waitcnt lgkmcnt(0)
	v_add_co_u32 v15, vcc_lo, v12, v70
	v_add_co_ci_u32_e64 v16, null, v13, v71, vcc_lo
	v_add_co_u32 v8, vcc_lo, v8, v87
	v_add_co_ci_u32_e64 v9, null, v9, v14, vcc_lo
	;; [unrolled: 2-line block ×3, first 2 shown]
	v_cmp_ne_u64_e32 vcc_lo, 0, v[12:13]
	v_add_co_u32 v10, s16, v10, v87
	v_add_co_ci_u32_e64 v11, null, v11, v14, s16
	v_cndmask_b32_e32 v13, 0, v16, vcc_lo
	v_cndmask_b32_e32 v12, 0, v15, vcc_lo
	ds_write_b64 v0, v[8:9]
	ds_write_b64 v0, v[10:11]
	;; [unrolled: 1-line block ×3, first 2 shown]
.LBB6_498:                              ;   in Loop: Header=BB6_496 Depth=2
	s_or_b32 exec_lo, exec_lo, s17
	v_sub_nc_u32_e32 v8, v3, v87
	v_and_b32_e32 v9, 12, v116
	s_mov_b32 s17, exec_lo
	v_min_i32_e32 v84, v84, v8
	v_cmpx_ne_u32_e32 0, v9
	s_cbranch_execz .LBB6_524
; %bb.499:                              ;   in Loop: Header=BB6_496 Depth=2
	v_and_b32_e32 v16, 8, v116
	s_mov_b32 s18, exec_lo
	s_waitcnt vmcnt(0) lgkmcnt(1)
	v_add_co_u32 v10, vcc_lo, v64, v16
	v_add_co_ci_u32_e64 v11, null, 0, v65, vcc_lo
	v_add_co_u32 v8, vcc_lo, v80, 2
	v_add_co_ci_u32_e64 v9, null, 0, v81, vcc_lo
	v_cmpx_lt_u64_e64 v[10:11], v[8:9]
	s_cbranch_execz .LBB6_511
; %bb.500:                              ;   in Loop: Header=BB6_496 Depth=2
	v_and_b32_e32 v10, 64, v116
	s_mov_b32 s19, 0
	s_mov_b32 s73, 0
                                        ; implicit-def: $sgpr22
                                        ; implicit-def: $sgpr23
                                        ; implicit-def: $sgpr72
	v_cmp_eq_u32_e32 vcc_lo, 0, v10
	s_branch .LBB6_504
.LBB6_501:                              ;   in Loop: Header=BB6_504 Depth=3
	s_waitcnt vmcnt(0) lgkmcnt(0)
	v_add_co_u32 v11, s16, v64, v16
	v_add_co_ci_u32_e64 v12, null, 0, v65, s16
	s_or_b32 s76, s76, exec_lo
	v_cmp_ge_u64_e64 s16, v[11:12], v[8:9]
	s_orn2_b32 s75, s16, exec_lo
.LBB6_502:                              ;   in Loop: Header=BB6_504 Depth=3
	s_or_b32 exec_lo, exec_lo, s78
	s_andn2_b32 s16, s72, exec_lo
	s_and_b32 s72, s76, exec_lo
	s_andn2_b32 s23, s23, exec_lo
	s_and_b32 s75, s75, exec_lo
	s_or_b32 s72, s16, s72
	s_or_b32 s23, s23, s75
.LBB6_503:                              ;   in Loop: Header=BB6_504 Depth=3
	s_or_b32 exec_lo, exec_lo, s74
	s_and_b32 s16, exec_lo, s23
	s_or_b32 s19, s16, s19
	s_andn2_b32 s16, s22, exec_lo
	s_and_b32 s22, s72, exec_lo
	s_or_b32 s22, s16, s22
	s_andn2_b32 exec_lo, exec_lo, s19
	s_cbranch_execz .LBB6_508
.LBB6_504:                              ;   Parent Loop BB6_47 Depth=1
                                        ;     Parent Loop BB6_496 Depth=2
                                        ; =>    This Inner Loop Header: Depth=3
	s_sleep 1
	s_waitcnt vmcnt(0) lgkmcnt(0)
	flat_load_dwordx2 v[64:65], v[48:49] glc dlc
	s_or_b32 s72, s72, exec_lo
	s_or_b32 s23, s23, exec_lo
                                        ; implicit-def: $vgpr10
	s_and_saveexec_b32 s74, vcc_lo
	s_cbranch_execz .LBB6_503
; %bb.505:                              ;   in Loop: Header=BB6_504 Depth=3
	s_cmpk_lt_i32 s73, 0x270f
	s_mov_b32 s75, -1
	s_cselect_b32 s77, -1, 0
	s_cmpk_gt_i32 s73, 0x270e
	s_cbranch_scc0 .LBB6_507
; %bb.506:                              ;   in Loop: Header=BB6_504 Depth=3
	s_trap 2
	ds_read_b64 v[10:11], v0
	s_andn2_b32 s73, s77, exec_lo
	s_mov_b32 s76, 0
	s_waitcnt vmcnt(0) lgkmcnt(0)
	s_waitcnt_vscnt null, 0x0
	flat_load_dword v10, v[10:11] glc dlc
	s_waitcnt vmcnt(0) lgkmcnt(0)
	buffer_gl1_inv
	buffer_gl0_inv
	v_cmp_eq_u32_e64 s16, 0, v10
	s_and_b32 s16, s16, exec_lo
	s_or_b32 s77, s73, s16
	s_mov_b32 s73, 0
	s_and_saveexec_b32 s78, s77
	s_cbranch_execz .LBB6_502
	s_branch .LBB6_501
.LBB6_507:                              ;   in Loop: Header=BB6_504 Depth=3
	s_add_i32 s73, s73, 1
	s_mov_b32 s76, -1
                                        ; implicit-def: $vgpr10
	s_and_saveexec_b32 s78, s77
	s_cbranch_execz .LBB6_502
	s_branch .LBB6_501
.LBB6_508:                              ;   in Loop: Header=BB6_496 Depth=2
	s_or_b32 exec_lo, exec_lo, s19
	s_xor_b32 s16, s22, -1
	s_and_saveexec_b32 s19, s16
	s_xor_b32 s16, exec_lo, s19
	s_cbranch_execz .LBB6_510
; %bb.509:                              ;   in Loop: Header=BB6_496 Depth=2
	v_or_b32_e32 v116, 64, v116
	s_waitcnt vmcnt(0) lgkmcnt(0)
	s_waitcnt_vscnt null, 0x0
	ds_write_b32 v0, v10
	s_trap 2
.LBB6_510:                              ;   in Loop: Header=BB6_496 Depth=2
	s_or_b32 exec_lo, exec_lo, s16
.LBB6_511:                              ;   in Loop: Header=BB6_496 Depth=2
	s_or_b32 exec_lo, exec_lo, s18
	v_and_b32_e32 v10, 0x108, v116
	;;#ASMSTART
	s_wakeup
	;;#ASMEND
	v_cmp_ne_u32_e32 vcc_lo, 0x108, v10
                                        ; implicit-def: $vgpr10_vgpr11
	s_and_saveexec_b32 s16, vcc_lo
	s_xor_b32 s16, exec_lo, s16
; %bb.512:                              ;   in Loop: Header=BB6_496 Depth=2
	v_and_b32_e32 v10, 7, v80
	v_mov_b32_e32 v11, v2
                                        ; implicit-def: $vgpr80_vgpr81
; %bb.513:                              ;   in Loop: Header=BB6_496 Depth=2
	s_andn2_saveexec_b32 s16, s16
	s_cbranch_execz .LBB6_515
; %bb.514:                              ;   in Loop: Header=BB6_496 Depth=2
	v_and_b32_e32 v10, 7, v80
	v_ashrrev_i32_e32 v85, 31, v84
	v_mov_b32_e32 v11, v2
	v_mad_u64_u32 v[12:13], null, v10, 24, v[6:7]
	flat_store_dwordx2 v[12:13], v[84:85] offset:8
.LBB6_515:                              ;   in Loop: Header=BB6_496 Depth=2
	s_or_b32 exec_lo, exec_lo, s16
	v_and_b32_e32 v12, 0x100, v116
	s_mov_b32 s16, -1
	v_cmp_ne_u32_e32 vcc_lo, 0, v12
                                        ; implicit-def: $vgpr12_vgpr13
	s_and_saveexec_b32 s18, vcc_lo
	s_cbranch_execz .LBB6_519
; %bb.516:                              ;   in Loop: Header=BB6_496 Depth=2
	v_mad_u64_u32 v[14:15], null, v10, 24, v[6:7]
	v_mov_b32_e32 v12, v15
	v_mad_u64_u32 v[12:13], null, v11, 24, v[12:13]
	v_mov_b32_e32 v15, v12
	flat_load_dword v12, v[14:15]
	s_waitcnt vmcnt(0) lgkmcnt(0)
	v_cmp_eq_u32_e64 s16, 1, v12
	v_cmp_ne_u32_e32 vcc_lo, 1, v12
                                        ; implicit-def: $vgpr12_vgpr13
	s_and_saveexec_b32 s19, s16
	s_cbranch_execz .LBB6_518
; %bb.517:                              ;   in Loop: Header=BB6_496 Depth=2
	flat_load_dword v12, v[14:15] offset:4 glc dlc
	s_waitcnt vmcnt(0) lgkmcnt(0)
	v_ashrrev_i32_e32 v13, 31, v12
.LBB6_518:                              ;   in Loop: Header=BB6_496 Depth=2
	s_or_b32 exec_lo, exec_lo, s19
	s_orn2_b32 s16, vcc_lo, exec_lo
.LBB6_519:                              ;   in Loop: Header=BB6_496 Depth=2
	s_or_b32 exec_lo, exec_lo, s18
	s_and_saveexec_b32 s18, s16
; %bb.520:                              ;   in Loop: Header=BB6_496 Depth=2
	v_mul_lo_u32 v11, v11, v117
	v_mul_lo_u32 v14, v10, v118
	v_mad_u64_u32 v[12:13], null, v10, v117, 0
	v_add3_u32 v13, v13, v14, v11
; %bb.521:                              ;   in Loop: Header=BB6_496 Depth=2
	s_or_b32 exec_lo, exec_lo, s18
	v_cmp_eq_u32_e32 vcc_lo, 0, v16
	v_and_b32_e32 v15, 0x2000, v116
	s_mov_b32 s16, exec_lo
	v_cndmask_b32_e32 v14, 0xd0, v42, vcc_lo
	v_add_co_u32 v10, vcc_lo, v50, v12
	v_add_co_ci_u32_e64 v11, null, v51, v13, vcc_lo
	v_add_nc_u32_e32 v12, v0, v14
	ds_write_b64 v12, v[10:11] offset:584
	v_cmpx_ne_u32_e32 0, v15
	s_cbranch_execz .LBB6_523
; %bb.522:                              ;   in Loop: Header=BB6_496 Depth=2
	ds_read_b64 v[10:11], v0 offset:872
	s_waitcnt lgkmcnt(0)
	v_add_co_u32 v10, vcc_lo, v10, 1
	v_add_co_ci_u32_e64 v11, null, 0, v11, vcc_lo
	ds_write_b64 v0, v[10:11] offset:872
.LBB6_523:                              ;   in Loop: Header=BB6_496 Depth=2
	s_or_b32 exec_lo, exec_lo, s16
	v_mov_b32_e32 v81, v9
	v_mov_b32_e32 v80, v8
.LBB6_524:                              ;   in Loop: Header=BB6_496 Depth=2
	s_or_b32 exec_lo, exec_lo, s17
	s_and_saveexec_b32 s16, s6
	s_cbranch_execz .LBB6_543
; %bb.525:                              ;   in Loop: Header=BB6_496 Depth=2
	s_and_saveexec_b32 s17, s29
	s_xor_b32 s17, exec_lo, s17
	s_cbranch_execz .LBB6_540
; %bb.526:                              ;   in Loop: Header=BB6_496 Depth=2
	s_and_saveexec_b32 s18, s11
	s_cbranch_execz .LBB6_539
; %bb.527:                              ;   in Loop: Header=BB6_496 Depth=2
	s_mov_b32 s22, exec_lo
	s_mov_b32 s19, exec_lo
	v_mbcnt_lo_u32_b32 v8, s22, 0
	s_waitcnt vmcnt(0) lgkmcnt(0)
	s_waitcnt_vscnt null, 0x0
	buffer_gl1_inv
	buffer_gl0_inv
	v_cmpx_eq_u32_e32 0, v8
	s_cbranch_execz .LBB6_529
; %bb.528:                              ;   in Loop: Header=BB6_496 Depth=2
	s_bcnt1_i32_b32 s22, s22
	v_mov_b32_e32 v9, v2
	v_mov_b32_e32 v8, s22
	ds_add_u64 v0, v[8:9]
	s_trap 2
.LBB6_529:                              ;   in Loop: Header=BB6_496 Depth=2
	s_or_b32 exec_lo, exec_lo, s19
	s_trap 2
	ds_read_b64 v[8:9], v0
	s_waitcnt lgkmcnt(0)
	buffer_gl0_inv
	v_add_co_u32 v54, vcc_lo, v54, v119
	v_add_co_ci_u32_e64 v55, null, 0, v55, vcc_lo
	s_mov_b32 s19, exec_lo
	v_cmpx_lt_u64_e64 v[8:9], v[54:55]
	s_cbranch_execz .LBB6_538
; %bb.530:                              ;   in Loop: Header=BB6_496 Depth=2
	s_mov_b32 s22, 0
	s_mov_b32 s73, 0
                                        ; implicit-def: $sgpr23
                                        ; implicit-def: $sgpr72
	s_inst_prefetch 0x1
	s_branch .LBB6_532
	.p2align	6
.LBB6_531:                              ;   in Loop: Header=BB6_532 Depth=3
	s_or_b32 exec_lo, exec_lo, s75
	s_and_b32 s74, exec_lo, s76
	s_or_b32 s22, s74, s22
	s_andn2_b32 s23, s23, exec_lo
	s_and_b32 s74, s72, exec_lo
	s_or_b32 s23, s23, s74
	s_andn2_b32 exec_lo, exec_lo, s22
	s_cbranch_execz .LBB6_536
.LBB6_532:                              ;   Parent Loop BB6_47 Depth=1
                                        ;     Parent Loop BB6_496 Depth=2
                                        ; =>    This Inner Loop Header: Depth=3
	s_add_i32 s73, s73, 1
	s_cmpk_lg_i32 s73, 0x2710
	s_cselect_b32 s74, -1, 0
	s_and_b32 vcc_lo, exec_lo, s74
	s_cbranch_vccz .LBB6_534
; %bb.533:                              ;   in Loop: Header=BB6_532 Depth=3
	s_mov_b32 s76, -1
	s_or_b32 s72, s72, exec_lo
	s_and_saveexec_b32 s75, s74
	s_cbranch_execz .LBB6_531
	s_branch .LBB6_535
	.p2align	6
.LBB6_534:                              ;   in Loop: Header=BB6_532 Depth=3
	s_trap 2
	ds_read_b64 v[8:9], v0
	s_andn2_b32 s74, s74, exec_lo
	s_mov_b32 s73, 0
	s_waitcnt lgkmcnt(0)
	flat_load_dword v8, v[8:9] glc dlc
	s_waitcnt vmcnt(0) lgkmcnt(0)
	buffer_gl1_inv
	buffer_gl0_inv
	v_cmp_eq_u32_e32 vcc_lo, 0, v8
	s_and_b32 s75, vcc_lo, exec_lo
	s_or_b32 s74, s74, s75
	s_mov_b32 s76, -1
	s_or_b32 s72, s72, exec_lo
	s_and_saveexec_b32 s75, s74
	s_cbranch_execz .LBB6_531
.LBB6_535:                              ;   in Loop: Header=BB6_532 Depth=3
	s_sleep 1
	s_trap 2
	ds_read_b64 v[8:9], v0
	s_waitcnt lgkmcnt(0)
	buffer_gl0_inv
	s_andn2_b32 s72, s72, exec_lo
	v_cmp_ge_u64_e32 vcc_lo, v[8:9], v[54:55]
	s_orn2_b32 s76, vcc_lo, exec_lo
	s_branch .LBB6_531
.LBB6_536:                              ;   in Loop: Header=BB6_496 Depth=2
	s_inst_prefetch 0x2
	s_or_b32 exec_lo, exec_lo, s22
	s_and_saveexec_b32 s22, s23
	s_xor_b32 s22, exec_lo, s22
	s_cbranch_execz .LBB6_538
; %bb.537:                              ;   in Loop: Header=BB6_496 Depth=2
	ds_write_b32 v0, v41
	s_trap 2
.LBB6_538:                              ;   in Loop: Header=BB6_496 Depth=2
	s_or_b32 exec_lo, exec_lo, s19
	;;#ASMSTART
	s_wakeup
	;;#ASMEND
.LBB6_539:                              ;   in Loop: Header=BB6_496 Depth=2
	s_or_b32 exec_lo, exec_lo, s18
.LBB6_540:                              ;   in Loop: Header=BB6_496 Depth=2
	s_andn2_saveexec_b32 s17, s17
	s_cbranch_execz .LBB6_542
; %bb.541:                              ;   in Loop: Header=BB6_496 Depth=2
	s_waitcnt vmcnt(0) lgkmcnt(0)
	s_waitcnt_vscnt null, 0x0
	buffer_gl1_inv
	buffer_gl0_inv
	s_barrier
.LBB6_542:                              ;   in Loop: Header=BB6_496 Depth=2
	s_or_b32 exec_lo, exec_lo, s17
.LBB6_543:                              ;   in Loop: Header=BB6_496 Depth=2
	s_or_b32 exec_lo, exec_lo, s16
	s_trap 2
	ds_read_b32 v8, v0
	v_and_b32_e32 v9, 0x4000, v116
	s_xor_b32 s16, s5, -1
	v_cmp_ne_u32_e32 vcc_lo, 0, v9
	s_and_b32 s17, s16, vcc_lo
	s_and_saveexec_b32 s16, s17
	s_cbranch_execz .LBB6_562
; %bb.544:                              ;   in Loop: Header=BB6_496 Depth=2
	s_and_saveexec_b32 s17, s29
	s_xor_b32 s17, exec_lo, s17
	s_cbranch_execz .LBB6_559
; %bb.545:                              ;   in Loop: Header=BB6_496 Depth=2
	s_and_saveexec_b32 s18, s11
	s_cbranch_execz .LBB6_558
; %bb.546:                              ;   in Loop: Header=BB6_496 Depth=2
	s_mov_b32 s22, exec_lo
	s_mov_b32 s19, exec_lo
	v_mbcnt_lo_u32_b32 v9, s22, 0
	s_waitcnt vmcnt(0) lgkmcnt(0)
	s_waitcnt_vscnt null, 0x0
	buffer_gl1_inv
	buffer_gl0_inv
	v_cmpx_eq_u32_e32 0, v9
	s_cbranch_execz .LBB6_548
; %bb.547:                              ;   in Loop: Header=BB6_496 Depth=2
	s_bcnt1_i32_b32 s22, s22
	v_mov_b32_e32 v10, v2
	v_mov_b32_e32 v9, s22
	ds_add_u64 v0, v[9:10]
	s_trap 2
.LBB6_548:                              ;   in Loop: Header=BB6_496 Depth=2
	s_or_b32 exec_lo, exec_lo, s19
	s_trap 2
	ds_read_b64 v[9:10], v0
	s_waitcnt lgkmcnt(0)
	buffer_gl0_inv
	v_add_co_u32 v54, vcc_lo, v54, v119
	v_add_co_ci_u32_e64 v55, null, 0, v55, vcc_lo
	s_mov_b32 s19, exec_lo
	v_cmpx_lt_u64_e64 v[9:10], v[54:55]
	s_cbranch_execz .LBB6_557
; %bb.549:                              ;   in Loop: Header=BB6_496 Depth=2
	s_mov_b32 s22, 0
	s_mov_b32 s73, 0
                                        ; implicit-def: $sgpr23
                                        ; implicit-def: $sgpr72
	s_inst_prefetch 0x1
	s_branch .LBB6_551
	.p2align	6
.LBB6_550:                              ;   in Loop: Header=BB6_551 Depth=3
	s_or_b32 exec_lo, exec_lo, s75
	s_and_b32 s74, exec_lo, s76
	s_or_b32 s22, s74, s22
	s_andn2_b32 s23, s23, exec_lo
	s_and_b32 s74, s72, exec_lo
	s_or_b32 s23, s23, s74
	s_andn2_b32 exec_lo, exec_lo, s22
	s_cbranch_execz .LBB6_555
.LBB6_551:                              ;   Parent Loop BB6_47 Depth=1
                                        ;     Parent Loop BB6_496 Depth=2
                                        ; =>    This Inner Loop Header: Depth=3
	s_add_i32 s73, s73, 1
	s_cmpk_lg_i32 s73, 0x2710
	s_cselect_b32 s74, -1, 0
	s_and_b32 vcc_lo, exec_lo, s74
	s_cbranch_vccz .LBB6_553
; %bb.552:                              ;   in Loop: Header=BB6_551 Depth=3
	s_mov_b32 s76, -1
	s_or_b32 s72, s72, exec_lo
	s_and_saveexec_b32 s75, s74
	s_cbranch_execz .LBB6_550
	s_branch .LBB6_554
	.p2align	6
.LBB6_553:                              ;   in Loop: Header=BB6_551 Depth=3
	s_trap 2
	ds_read_b64 v[9:10], v0
	s_andn2_b32 s74, s74, exec_lo
	s_mov_b32 s73, 0
	s_waitcnt lgkmcnt(0)
	flat_load_dword v9, v[9:10] glc dlc
	s_waitcnt vmcnt(0) lgkmcnt(0)
	buffer_gl1_inv
	buffer_gl0_inv
	v_cmp_eq_u32_e32 vcc_lo, 0, v9
	s_and_b32 s75, vcc_lo, exec_lo
	s_or_b32 s74, s74, s75
	s_mov_b32 s76, -1
	s_or_b32 s72, s72, exec_lo
	s_and_saveexec_b32 s75, s74
	s_cbranch_execz .LBB6_550
.LBB6_554:                              ;   in Loop: Header=BB6_551 Depth=3
	s_sleep 1
	s_trap 2
	ds_read_b64 v[9:10], v0
	s_waitcnt lgkmcnt(0)
	buffer_gl0_inv
	s_andn2_b32 s72, s72, exec_lo
	v_cmp_ge_u64_e32 vcc_lo, v[9:10], v[54:55]
	s_orn2_b32 s76, vcc_lo, exec_lo
	s_branch .LBB6_550
.LBB6_555:                              ;   in Loop: Header=BB6_496 Depth=2
	s_inst_prefetch 0x2
	s_or_b32 exec_lo, exec_lo, s22
	s_and_saveexec_b32 s22, s23
	s_xor_b32 s22, exec_lo, s22
	s_cbranch_execz .LBB6_557
; %bb.556:                              ;   in Loop: Header=BB6_496 Depth=2
	ds_write_b32 v0, v41
	s_trap 2
.LBB6_557:                              ;   in Loop: Header=BB6_496 Depth=2
	s_or_b32 exec_lo, exec_lo, s19
	;;#ASMSTART
	s_wakeup
	;;#ASMEND
.LBB6_558:                              ;   in Loop: Header=BB6_496 Depth=2
	s_or_b32 exec_lo, exec_lo, s18
.LBB6_559:                              ;   in Loop: Header=BB6_496 Depth=2
	s_andn2_saveexec_b32 s17, s17
	s_cbranch_execz .LBB6_561
; %bb.560:                              ;   in Loop: Header=BB6_496 Depth=2
	s_waitcnt vmcnt(0) lgkmcnt(0)
	s_waitcnt_vscnt null, 0x0
	buffer_gl1_inv
	buffer_gl0_inv
	s_barrier
.LBB6_561:                              ;   in Loop: Header=BB6_496 Depth=2
	s_or_b32 exec_lo, exec_lo, s17
.LBB6_562:                              ;   in Loop: Header=BB6_496 Depth=2
	s_or_b32 exec_lo, exec_lo, s16
	s_trap 2
	ds_read_b64 v[85:86], v0
	s_waitcnt lgkmcnt(0)
	v_cmp_eq_u64_e32 vcc_lo, 0, v[85:86]
	s_cbranch_vccnz .LBB6_571
; %bb.563:                              ;   in Loop: Header=BB6_496 Depth=2
	s_trap 2
	ds_read_b64 v[96:97], v0
	s_waitcnt lgkmcnt(0)
	v_cmp_eq_u64_e32 vcc_lo, 0, v[96:97]
	s_cbranch_vccnz .LBB6_571
; %bb.564:                              ;   in Loop: Header=BB6_496 Depth=2
	s_trap 2
	ds_read_b64 v[98:99], v0
	v_cmp_eq_u32_e64 s16, 0, v8
	v_cndmask_b32_e64 v91, 0, v84, s16
	s_mov_b32 s16, -1
	s_waitcnt lgkmcnt(0)
	v_cmp_ne_u64_e32 vcc_lo, 0, v[98:99]
	s_cbranch_vccz .LBB6_602
; %bb.565:                              ;   in Loop: Header=BB6_496 Depth=2
	s_and_saveexec_b32 s17, s15
	s_cbranch_execz .LBB6_567
; %bb.566:                              ;   in Loop: Header=BB6_496 Depth=2
	ds_read_b32 v1, v0 offset:720
	s_waitcnt lgkmcnt(0)
	v_and_b32_e32 v1, 15, v1
	v_cmp_eq_u32_e32 vcc_lo, 0, v1
	s_orn2_b32 s16, vcc_lo, exec_lo
.LBB6_567:                              ;   in Loop: Header=BB6_496 Depth=2
	s_or_b32 exec_lo, exec_lo, s17
	s_and_saveexec_b32 s17, s15
	s_cbranch_execz .LBB6_569
; %bb.568:                              ;   in Loop: Header=BB6_496 Depth=2
	ds_read_b32 v1, v0 offset:784
	s_waitcnt lgkmcnt(0)
	v_and_b32_e32 v1, 15, v1
	v_cmp_eq_u32_e32 vcc_lo, 0, v1
	s_and_b32 s18, s16, vcc_lo
	s_andn2_b32 s16, s16, exec_lo
	s_and_b32 s18, s18, exec_lo
	s_or_b32 s16, s16, s18
.LBB6_569:                              ;   in Loop: Header=BB6_496 Depth=2
	s_or_b32 exec_lo, exec_lo, s17
	s_xor_b32 s16, s16, -1
	v_mov_b32_e32 v16, 0
	v_cndmask_b32_e64 v1, 0, 1, s16
	v_mov_b32_e32 v17, v91
	v_mov_b32_e32 v18, v0
	v_mov_b32_e32 v8, v60
	s_mov_b32 s16, -1
	v_cmp_ne_u32_e32 vcc_lo, 0, v1
	s_cbranch_vccz .LBB6_576
; %bb.570:                              ;   in Loop: Header=BB6_496 Depth=2
	s_and_saveexec_b32 s22, s16
	s_cbranch_execnz .LBB6_591
	s_branch .LBB6_601
.LBB6_571:                              ;   in Loop: Header=BB6_496 Depth=2
	s_mov_b32 s16, 0
	s_and_saveexec_b32 s17, s6
	s_cbranch_execnz .LBB6_632
.LBB6_572:                              ;   in Loop: Header=BB6_496 Depth=2
	s_or_b32 exec_lo, exec_lo, s17
                                        ; implicit-def: $vgpr8
	s_and_saveexec_b32 s17, s13
	s_xor_b32 s17, exec_lo, s17
	s_cbranch_execz .LBB6_650
.LBB6_573:                              ;   in Loop: Header=BB6_496 Depth=2
	v_and_b32_e32 v1, 16, v116
	v_and_b32_e32 v8, 16, v116
	v_cmp_ne_u32_e32 vcc_lo, 0, v1
	s_and_b32 s18, vcc_lo, s16
	s_and_saveexec_b32 s16, s18
	s_cbranch_execz .LBB6_575
; %bb.574:                              ;   in Loop: Header=BB6_496 Depth=2
	v_mov_b32_e32 v8, 1
	s_waitcnt vmcnt(0) lgkmcnt(0)
	s_waitcnt_vscnt null, 0x0
	buffer_gl1_inv
	buffer_gl0_inv
.LBB6_575:                              ;   in Loop: Header=BB6_496 Depth=2
	s_or_b32 exec_lo, exec_lo, s16
	s_andn2_saveexec_b32 s16, s17
	s_cbranch_execz .LBB6_669
	s_branch .LBB6_651
.LBB6_576:                              ;   in Loop: Header=BB6_496 Depth=2
	v_ashrrev_i32_e32 v1, 31, v91
	s_mov_b32 s16, exec_lo
	v_lshrrev_b32_e32 v1, 21, v1
	v_add_nc_u32_e32 v1, v91, v1
	v_ashrrev_i32_e32 v93, 11, v1
	v_sub_nc_u32_e32 v92, v93, v60
	v_cmpx_lt_i32_e32 0, v92
	s_cbranch_execz .LBB6_580
; %bb.577:                              ;   in Loop: Header=BB6_496 Depth=2
	s_trap 2
	s_clause 0x1
	buffer_load_dword v1, off, s[0:3], s33 offset:208
	buffer_load_dword v4, off, s[0:3], s33 offset:212
	ds_read_b64 v[8:9], v0
	s_mov_b32 s17, 0
	s_waitcnt vmcnt(1)
	v_add_co_u32 v100, vcc_lo, v96, v1
	s_waitcnt vmcnt(0)
	v_add_co_ci_u32_e64 v101, null, v97, v4, vcc_lo
	v_add_co_u32 v102, vcc_lo, v98, v1
	v_add_co_ci_u32_e64 v103, null, v99, v4, vcc_lo
	v_add_co_u32 v112, vcc_lo, v85, v1
	v_add_co_ci_u32_e64 v113, null, v86, v4, vcc_lo
	s_waitcnt lgkmcnt(0)
	v_add_co_u32 v114, vcc_lo, v8, v1
	v_add_co_ci_u32_e64 v115, null, v9, v4, vcc_lo
.LBB6_578:                              ;   Parent Loop BB6_47 Depth=1
                                        ;     Parent Loop BB6_496 Depth=2
                                        ; =>    This Inner Loop Header: Depth=3
	s_clause 0x3
	global_load_dwordx4 v[8:11], v[112:113], off slc
	global_load_dwordx4 v[20:23], v[112:113], off offset:512 slc
	global_load_dwordx4 v[24:27], v[112:113], off offset:1024 slc
	;; [unrolled: 1-line block ×3, first 2 shown]
	s_clause 0x3
	global_load_dwordx4 v[104:107], v[114:115], off slc
	global_load_dwordx4 v[108:111], v[114:115], off offset:512 slc
	global_load_dwordx4 v[32:35], v[114:115], off offset:1024 slc
	;; [unrolled: 1-line block ×3, first 2 shown]
	v_add_co_u32 v112, vcc_lo, v112, v56
	v_add_co_ci_u32_e64 v113, null, 0, v113, vcc_lo
	v_add_co_u32 v114, vcc_lo, v114, v56
	v_sub_nc_u32_e32 v92, v92, v119
	v_add_co_ci_u32_e64 v115, null, 0, v115, vcc_lo
	s_waitcnt vmcnt(7)
	v_and_b32_e32 v5, 0xff00, v8
	v_lshlrev_b32_sdwa v1, v43, v8 dst_sel:DWORD dst_unused:UNUSED_PAD src0_sel:DWORD src1_sel:BYTE_3
	s_waitcnt vmcnt(3)
	v_lshrrev_b32_e32 v28, 8, v104
	v_mul_lo_u32 v4, v104, v8
	v_mul_u32_u24_sdwa v1, v104, v1 dst_sel:DWORD dst_unused:UNUSED_PAD src0_sel:BYTE_3 src1_sel:DWORD
	v_mul_u32_u24_e32 v5, v28, v5
	v_lshrrev_b32_e32 v28, 8, v105
	v_perm_b32 v4, v5, v4, 0xc0c0500
	v_mul_u32_u24_sdwa v5, v104, v8 dst_sel:DWORD dst_unused:UNUSED_PAD src0_sel:WORD_1 src1_sel:WORD_1
	v_perm_b32 v1, v1, v5, 0xc0c0500
	v_and_b32_e32 v5, 0xff00, v9
	v_lshl_or_b32 v8, v1, 16, v4
	v_mul_lo_u32 v4, v105, v9
	v_lshlrev_b32_sdwa v1, v43, v9 dst_sel:DWORD dst_unused:UNUSED_PAD src0_sel:DWORD src1_sel:BYTE_3
	v_mul_u32_u24_e32 v5, v28, v5
	v_lshrrev_b32_e32 v28, 8, v106
	v_mul_u32_u24_sdwa v1, v105, v1 dst_sel:DWORD dst_unused:UNUSED_PAD src0_sel:BYTE_3 src1_sel:DWORD
	v_perm_b32 v4, v5, v4, 0xc0c0500
	v_mul_u32_u24_sdwa v5, v105, v9 dst_sel:DWORD dst_unused:UNUSED_PAD src0_sel:WORD_1 src1_sel:WORD_1
	v_perm_b32 v1, v1, v5, 0xc0c0500
	v_and_b32_e32 v5, 0xff00, v10
	v_lshl_or_b32 v9, v1, 16, v4
	v_mul_lo_u32 v4, v106, v10
	v_lshlrev_b32_sdwa v1, v43, v10 dst_sel:DWORD dst_unused:UNUSED_PAD src0_sel:DWORD src1_sel:BYTE_3
	v_mul_u32_u24_e32 v5, v28, v5
	v_lshrrev_b32_e32 v28, 8, v107
	v_mul_u32_u24_sdwa v1, v106, v1 dst_sel:DWORD dst_unused:UNUSED_PAD src0_sel:BYTE_3 src1_sel:DWORD
	v_perm_b32 v4, v5, v4, 0xc0c0500
	v_mul_u32_u24_sdwa v5, v106, v10 dst_sel:DWORD dst_unused:UNUSED_PAD src0_sel:WORD_1 src1_sel:WORD_1
	v_perm_b32 v1, v1, v5, 0xc0c0500
	v_and_b32_e32 v5, 0xff00, v11
	v_lshl_or_b32 v10, v1, 16, v4
	v_mul_lo_u32 v4, v107, v11
	v_lshlrev_b32_sdwa v1, v43, v11 dst_sel:DWORD dst_unused:UNUSED_PAD src0_sel:DWORD src1_sel:BYTE_3
	v_mul_u32_u24_e32 v5, v28, v5
	s_waitcnt vmcnt(2)
	v_lshrrev_b32_e32 v28, 8, v108
	v_mul_u32_u24_sdwa v1, v107, v1 dst_sel:DWORD dst_unused:UNUSED_PAD src0_sel:BYTE_3 src1_sel:DWORD
	v_perm_b32 v4, v5, v4, 0xc0c0500
	v_mul_u32_u24_sdwa v5, v107, v11 dst_sel:DWORD dst_unused:UNUSED_PAD src0_sel:WORD_1 src1_sel:WORD_1
	v_perm_b32 v1, v1, v5, 0xc0c0500
	v_and_b32_e32 v5, 0xff00, v20
	v_lshl_or_b32 v11, v1, 16, v4
	v_mul_lo_u32 v4, v108, v20
	v_lshlrev_b32_sdwa v1, v43, v20 dst_sel:DWORD dst_unused:UNUSED_PAD src0_sel:DWORD src1_sel:BYTE_3
	v_mul_u32_u24_e32 v5, v28, v5
	v_lshrrev_b32_e32 v28, 8, v109
	v_mul_u32_u24_sdwa v1, v108, v1 dst_sel:DWORD dst_unused:UNUSED_PAD src0_sel:BYTE_3 src1_sel:DWORD
	v_perm_b32 v4, v5, v4, 0xc0c0500
	v_mul_u32_u24_sdwa v5, v108, v20 dst_sel:DWORD dst_unused:UNUSED_PAD src0_sel:WORD_1 src1_sel:WORD_1
	v_perm_b32 v1, v1, v5, 0xc0c0500
	v_and_b32_e32 v5, 0xff00, v21
	v_lshl_or_b32 v20, v1, 16, v4
	v_mul_lo_u32 v4, v109, v21
	v_lshlrev_b32_sdwa v1, v43, v21 dst_sel:DWORD dst_unused:UNUSED_PAD src0_sel:DWORD src1_sel:BYTE_3
	v_mul_u32_u24_e32 v5, v28, v5
	;; [unrolled: 10-line block ×4, first 2 shown]
	s_waitcnt vmcnt(1)
	v_lshrrev_b32_e32 v28, 8, v32
	v_mul_u32_u24_sdwa v1, v111, v1 dst_sel:DWORD dst_unused:UNUSED_PAD src0_sel:BYTE_3 src1_sel:DWORD
	v_perm_b32 v4, v5, v4, 0xc0c0500
	v_mul_u32_u24_sdwa v5, v111, v23 dst_sel:DWORD dst_unused:UNUSED_PAD src0_sel:WORD_1 src1_sel:WORD_1
	v_perm_b32 v1, v1, v5, 0xc0c0500
	v_and_b32_e32 v5, 0xff00, v24
	v_lshl_or_b32 v23, v1, 16, v4
	v_mul_lo_u32 v4, v32, v24
	v_lshlrev_b32_sdwa v1, v43, v24 dst_sel:DWORD dst_unused:UNUSED_PAD src0_sel:DWORD src1_sel:BYTE_3
	v_mul_u32_u24_e32 v5, v28, v5
	v_lshrrev_b32_e32 v28, 8, v33
	v_mul_u32_u24_sdwa v1, v32, v1 dst_sel:DWORD dst_unused:UNUSED_PAD src0_sel:BYTE_3 src1_sel:DWORD
	v_perm_b32 v4, v5, v4, 0xc0c0500
	v_mul_u32_u24_sdwa v5, v32, v24 dst_sel:DWORD dst_unused:UNUSED_PAD src0_sel:WORD_1 src1_sel:WORD_1
	v_perm_b32 v1, v1, v5, 0xc0c0500
	v_and_b32_e32 v5, 0xff00, v25
	v_lshl_or_b32 v24, v1, 16, v4
	v_mul_lo_u32 v4, v33, v25
	v_lshlrev_b32_sdwa v1, v43, v25 dst_sel:DWORD dst_unused:UNUSED_PAD src0_sel:DWORD src1_sel:BYTE_3
	v_mul_u32_u24_e32 v5, v28, v5
	;; [unrolled: 10-line block ×4, first 2 shown]
	s_waitcnt vmcnt(0)
	v_lshrrev_b32_e32 v28, 8, v16
	v_mul_u32_u24_sdwa v1, v35, v1 dst_sel:DWORD dst_unused:UNUSED_PAD src0_sel:BYTE_3 src1_sel:DWORD
	v_perm_b32 v4, v5, v4, 0xc0c0500
	v_mul_u32_u24_sdwa v5, v35, v27 dst_sel:DWORD dst_unused:UNUSED_PAD src0_sel:WORD_1 src1_sel:WORD_1
	v_perm_b32 v1, v1, v5, 0xc0c0500
	v_and_b32_e32 v5, 0xff00, v12
	v_lshl_or_b32 v27, v1, 16, v4
	v_mul_lo_u32 v4, v16, v12
	v_lshlrev_b32_sdwa v1, v43, v12 dst_sel:DWORD dst_unused:UNUSED_PAD src0_sel:DWORD src1_sel:BYTE_3
	v_mul_u32_u24_e32 v5, v28, v5
	v_mul_u32_u24_sdwa v1, v16, v1 dst_sel:DWORD dst_unused:UNUSED_PAD src0_sel:BYTE_3 src1_sel:DWORD
	v_perm_b32 v4, v5, v4, 0xc0c0500
	v_mul_u32_u24_sdwa v5, v16, v12 dst_sel:DWORD dst_unused:UNUSED_PAD src0_sel:WORD_1 src1_sel:WORD_1
	v_lshrrev_b32_e32 v16, 8, v17
	v_perm_b32 v1, v1, v5, 0xc0c0500
	v_and_b32_e32 v5, 0xff00, v13
	v_lshl_or_b32 v12, v1, 16, v4
	v_mul_lo_u32 v4, v17, v13
	v_lshlrev_b32_sdwa v1, v43, v13 dst_sel:DWORD dst_unused:UNUSED_PAD src0_sel:DWORD src1_sel:BYTE_3
	v_mul_u32_u24_e32 v5, v16, v5
	v_lshrrev_b32_e32 v16, 8, v18
	v_mul_u32_u24_sdwa v1, v17, v1 dst_sel:DWORD dst_unused:UNUSED_PAD src0_sel:BYTE_3 src1_sel:DWORD
	v_perm_b32 v4, v5, v4, 0xc0c0500
	v_mul_u32_u24_sdwa v5, v17, v13 dst_sel:DWORD dst_unused:UNUSED_PAD src0_sel:WORD_1 src1_sel:WORD_1
	v_perm_b32 v1, v1, v5, 0xc0c0500
	v_and_b32_e32 v5, 0xff00, v14
	v_lshl_or_b32 v13, v1, 16, v4
	v_mul_lo_u32 v4, v18, v14
	v_lshlrev_b32_sdwa v1, v43, v14 dst_sel:DWORD dst_unused:UNUSED_PAD src0_sel:DWORD src1_sel:BYTE_3
	v_mul_u32_u24_e32 v5, v16, v5
	v_lshrrev_b32_e32 v16, 8, v19
	v_mul_u32_u24_sdwa v1, v18, v1 dst_sel:DWORD dst_unused:UNUSED_PAD src0_sel:BYTE_3 src1_sel:DWORD
	v_perm_b32 v4, v5, v4, 0xc0c0500
	v_mul_u32_u24_sdwa v5, v18, v14 dst_sel:DWORD dst_unused:UNUSED_PAD src0_sel:WORD_1 src1_sel:WORD_1
	v_perm_b32 v1, v1, v5, 0xc0c0500
	v_and_b32_e32 v5, 0xff00, v15
	v_lshl_or_b32 v14, v1, 16, v4
	v_mul_lo_u32 v4, v19, v15
	v_lshlrev_b32_sdwa v1, v43, v15 dst_sel:DWORD dst_unused:UNUSED_PAD src0_sel:DWORD src1_sel:BYTE_3
	v_mul_u32_u24_e32 v5, v16, v5
	v_mul_u32_u24_sdwa v1, v19, v1 dst_sel:DWORD dst_unused:UNUSED_PAD src0_sel:BYTE_3 src1_sel:DWORD
	v_perm_b32 v4, v5, v4, 0xc0c0500
	v_mul_u32_u24_sdwa v5, v19, v15 dst_sel:DWORD dst_unused:UNUSED_PAD src0_sel:WORD_1 src1_sel:WORD_1
	v_perm_b32 v1, v1, v5, 0xc0c0500
	v_lshl_or_b32 v15, v1, 16, v4
	global_store_dwordx4 v[100:101], v[8:11], off glc slc
	global_store_dwordx4 v[100:101], v[20:23], off offset:512 glc slc
	global_store_dwordx4 v[100:101], v[24:27], off offset:1024 glc slc
	;; [unrolled: 1-line block ×3, first 2 shown]
	global_store_dwordx4 v[102:103], v[8:11], off glc slc
	global_store_dwordx4 v[102:103], v[20:23], off offset:512 glc slc
	global_store_dwordx4 v[102:103], v[24:27], off offset:1024 glc slc
	;; [unrolled: 1-line block ×3, first 2 shown]
	v_add_co_u32 v100, vcc_lo, v100, v56
	v_add_co_ci_u32_e64 v101, null, 0, v101, vcc_lo
	v_add_co_u32 v102, vcc_lo, v102, v56
	v_add_co_ci_u32_e64 v103, null, 0, v103, vcc_lo
	v_cmp_gt_i32_e32 vcc_lo, 1, v92
	s_or_b32 s17, vcc_lo, s17
	s_andn2_b32 exec_lo, exec_lo, s17
	s_cbranch_execnz .LBB6_578
; %bb.579:                              ;   in Loop: Header=BB6_496 Depth=2
	s_or_b32 exec_lo, exec_lo, s17
	s_clause 0x1
	buffer_load_dword v114, off, s[0:3], s33 offset:220
	buffer_load_dword v115, off, s[0:3], s33 offset:224
.LBB6_580:                              ;   in Loop: Header=BB6_496 Depth=2
	s_or_b32 exec_lo, exec_lo, s16
	v_lshlrev_b32_e32 v19, 11, v93
	v_mov_b32_e32 v16, 0
	s_mov_b32 s16, 0
	s_mov_b32 s19, exec_lo
                                        ; implicit-def: $vgpr17
                                        ; implicit-def: $vgpr18
                                        ; implicit-def: $vgpr8
	v_cmpx_ne_u32_e64 v91, v19
	s_cbranch_execz .LBB6_590
; %bb.581:                              ;   in Loop: Header=BB6_496 Depth=2
	buffer_load_dword v4, off, s[0:3], s33 offset:188 ; 4-byte Folded Reload
	v_lshlrev_b32_e32 v1, 5, v92
	v_sub_nc_u32_e32 v5, v91, v19
	s_mov_b32 s72, exec_lo
	v_ashrrev_i32_e32 v8, 31, v5
	v_lshrrev_b32_e32 v8, 23, v8
	v_add_nc_u32_e32 v8, v5, v8
	v_and_b32_e32 v20, 0xfffffe00, v8
	v_sub_nc_u32_e32 v22, v5, v20
	v_cmp_lt_i32_e64 s16, 15, v22
	s_waitcnt vmcnt(0)
	v_sub_nc_u32_e32 v1, v4, v1
	v_ashrrev_i32_e32 v4, 31, v1
	v_lshrrev_b32_e32 v4, 27, v4
	v_add_nc_u32_e32 v4, v1, v4
	v_and_b32_e32 v9, 0xffffffe0, v4
	v_sub_nc_u32_e32 v21, v1, v9
	v_ashrrev_i32_e32 v1, 5, v4
	v_ashrrev_i32_e32 v9, 9, v8
	v_lshlrev_b32_e32 v4, 4, v21
	v_lshl_add_u32 v8, v1, 9, v4
	v_add_co_ci_u32_e64 v4, null, 0, v9, s16
	v_sub_nc_u32_e32 v16, v5, v8
	v_sub_nc_u32_e32 v23, v4, v1
	v_cmpx_lt_i32_e32 15, v16
	s_cbranch_execz .LBB6_587
; %bb.582:                              ;   in Loop: Header=BB6_496 Depth=2
	s_trap 2
	ds_read_b64 v[9:10], v0
	v_add_nc_u32_e32 v1, v8, v19
	s_mov_b32 s73, 0
	v_ashrrev_i32_e32 v4, 31, v1
	v_add_co_u32 v17, vcc_lo, v1, v96
	v_add_co_ci_u32_e64 v18, null, v4, v97, vcc_lo
	v_add_co_u32 v24, vcc_lo, v1, v98
	v_add_co_ci_u32_e64 v25, null, v4, v99, vcc_lo
	;; [unrolled: 2-line block ×3, first 2 shown]
	s_waitcnt lgkmcnt(0)
	v_add_co_u32 v14, vcc_lo, v9, v1
	v_add_co_ci_u32_e64 v15, null, v10, v4, vcc_lo
.LBB6_583:                              ;   Parent Loop BB6_47 Depth=1
                                        ;     Parent Loop BB6_496 Depth=2
                                        ; =>    This Loop Header: Depth=3
                                        ;         Child Loop BB6_584 Depth 4
	global_load_dwordx4 v[8:11], v[14:15], off slc
	global_load_dwordx4 v[32:35], v[12:13], off slc
	s_mov_b64 s[22:23], 0
	s_mov_b32 s74, -1
	s_waitcnt vmcnt(1)
	v_lshrrev_b32_e32 v1, 8, v8
	v_lshrrev_b32_e32 v4, 8, v9
	;; [unrolled: 1-line block ×4, first 2 shown]
	s_waitcnt vmcnt(0)
	v_lshlrev_b32_sdwa v27, v43, v32 dst_sel:DWORD dst_unused:UNUSED_PAD src0_sel:DWORD src1_sel:BYTE_3
	v_and_b32_e32 v29, 0xff00, v32
	v_lshlrev_b32_sdwa v31, v43, v33 dst_sel:DWORD dst_unused:UNUSED_PAD src0_sel:DWORD src1_sel:BYTE_3
	v_and_b32_e32 v36, 0xff00, v33
	v_lshlrev_b32_sdwa v37, v43, v34 dst_sel:DWORD dst_unused:UNUSED_PAD src0_sel:DWORD src1_sel:BYTE_3
	v_and_b32_e32 v39, 0xff00, v34
	v_lshlrev_b32_sdwa v66, v43, v35 dst_sel:DWORD dst_unused:UNUSED_PAD src0_sel:DWORD src1_sel:BYTE_3
	v_and_b32_e32 v68, 0xff00, v35
	v_mul_lo_u32 v28, v8, v32
	v_mul_u32_u24_sdwa v30, v8, v32 dst_sel:DWORD dst_unused:UNUSED_PAD src0_sel:WORD_1 src1_sel:WORD_1
	v_mul_lo_u32 v32, v9, v33
	v_mul_lo_u32 v38, v10, v34
	;; [unrolled: 1-line block ×3, first 2 shown]
	v_mul_u32_u24_sdwa v33, v9, v33 dst_sel:DWORD dst_unused:UNUSED_PAD src0_sel:WORD_1 src1_sel:WORD_1
	v_mul_u32_u24_sdwa v34, v10, v34 dst_sel:DWORD dst_unused:UNUSED_PAD src0_sel:WORD_1 src1_sel:WORD_1
	;; [unrolled: 1-line block ×3, first 2 shown]
	v_mul_u32_u24_e32 v1, v1, v29
	v_mul_u32_u24_sdwa v8, v8, v27 dst_sel:DWORD dst_unused:UNUSED_PAD src0_sel:BYTE_3 src1_sel:DWORD
	v_mul_u32_u24_e32 v4, v4, v36
	v_mul_u32_u24_sdwa v9, v9, v31 dst_sel:DWORD dst_unused:UNUSED_PAD src0_sel:BYTE_3 src1_sel:DWORD
	;; [unrolled: 2-line block ×4, first 2 shown]
	v_perm_b32 v1, v1, v28, 0xc0c0500
	v_perm_b32 v8, v8, v30, 0xc0c0500
	;; [unrolled: 1-line block ×8, first 2 shown]
	v_lshl_or_b32 v8, v8, 16, v1
	v_lshl_or_b32 v9, v9, 16, v4
	;; [unrolled: 1-line block ×4, first 2 shown]
	.p2align	6
.LBB6_584:                              ;   Parent Loop BB6_47 Depth=1
                                        ;     Parent Loop BB6_496 Depth=2
                                        ;       Parent Loop BB6_583 Depth=3
                                        ; =>      This Inner Loop Header: Depth=4
	s_cmp_eq_u32 s22, 1
	s_cselect_b32 vcc_lo, -1, 0
	s_cmp_eq_u32 s22, 0
	v_cndmask_b32_e32 v26, v17, v24, vcc_lo
	v_cndmask_b32_e32 v27, v18, v25, vcc_lo
	s_mov_b64 s[22:23], 1
	v_add_co_u32 v1, s17, 0x200, v26
	v_add_co_ci_u32_e64 v4, null, 0, v27, s17
	s_cselect_b32 s17, -1, 0
	v_cndmask_b32_e32 v24, v24, v1, vcc_lo
	v_cndmask_b32_e64 v17, v17, v1, s17
	v_cndmask_b32_e32 v25, v25, v4, vcc_lo
	v_cndmask_b32_e64 v18, v18, v4, s17
	s_and_b32 s18, exec_lo, s74
	s_mov_b32 s74, 0
	s_mov_b32 vcc_lo, s18
	global_store_dwordx4 v[26:27], v[8:11], off glc slc
	s_cbranch_vccnz .LBB6_584
; %bb.585:                              ;   in Loop: Header=BB6_583 Depth=3
	v_add_nc_u32_e32 v1, 0xfffffe00, v46
	v_add_co_u32 v12, vcc_lo, v12, v74
	v_sub_nc_u32_e32 v16, v16, v46
	v_add_co_ci_u32_e64 v13, null, v13, v75, vcc_lo
	v_add_co_u32 v14, vcc_lo, v14, v74
	v_add_co_ci_u32_e64 v15, null, v15, v75, vcc_lo
	v_add_co_u32 v17, vcc_lo, v17, v1
	v_add_co_ci_u32_e64 v18, null, v18, v61, vcc_lo
	v_cmp_gt_i32_e32 vcc_lo, 16, v16
	v_add_co_u32 v24, s17, v24, v1
	v_add_co_ci_u32_e64 v25, null, v25, v61, s17
	v_sub_nc_u32_e32 v23, v23, v119
	s_or_b32 s73, vcc_lo, s73
	s_andn2_b32 exec_lo, exec_lo, s73
	s_cbranch_execnz .LBB6_583
; %bb.586:                              ;   in Loop: Header=BB6_496 Depth=2
	s_or_b32 exec_lo, exec_lo, s73
.LBB6_587:                              ;   in Loop: Header=BB6_496 Depth=2
	s_or_b32 exec_lo, exec_lo, s72
	v_and_b32_e32 v9, 15, v91
	v_mov_b32_e32 v16, 0
	s_mov_b32 s17, 0
	s_mov_b32 s18, exec_lo
                                        ; implicit-def: $vgpr18
                                        ; implicit-def: $vgpr8
	v_cndmask_b32_e64 v17, v22, v9, s16
	v_cmpx_ne_u32_e32 0, v17
	s_cbranch_execz .LBB6_589
; %bb.588:                              ;   in Loop: Header=BB6_496 Depth=2
	v_cmp_lt_i32_e32 vcc_lo, 0, v23
	v_sub_nc_u32_e32 v4, v22, v9
	s_mov_b32 s17, exec_lo
	v_cndmask_b32_e32 v1, 0, v119, vcc_lo
	v_cndmask_b32_e64 v4, 0, v4, s16
	v_sub_nc_u32_e32 v1, v1, v23
	v_add3_u32 v16, v20, v19, v4
	v_lshl_add_u32 v18, v1, 5, v21
	v_ashrrev_i32_e32 v1, 31, v18
	v_lshrrev_b32_e32 v1, 27, v1
	v_add_nc_u32_e32 v1, v18, v1
	v_ashrrev_i32_e32 v8, 5, v1
.LBB6_589:                              ;   in Loop: Header=BB6_496 Depth=2
	s_or_b32 exec_lo, exec_lo, s18
	s_and_b32 s16, s17, exec_lo
.LBB6_590:                              ;   in Loop: Header=BB6_496 Depth=2
	s_or_b32 exec_lo, exec_lo, s19
	s_and_saveexec_b32 s22, s16
	s_cbranch_execz .LBB6_601
.LBB6_591:                              ;   in Loop: Header=BB6_496 Depth=2
	v_ashrrev_i32_e32 v1, 31, v17
	s_mov_b32 s18, exec_lo
	v_lshrrev_b32_e32 v1, 22, v1
	v_add_nc_u32_e32 v1, v17, v1
	v_ashrrev_i32_e32 v21, 10, v1
	v_ashrrev_i32_e32 v1, 31, v18
	v_sub_nc_u32_e32 v19, v21, v8
	v_lshrrev_b32_e32 v20, 27, v1
	v_cmpx_lt_i32_e32 0, v19
	s_cbranch_execz .LBB6_595
; %bb.592:                              ;   in Loop: Header=BB6_496 Depth=2
	v_add_nc_u32_e32 v1, v18, v20
	s_trap 2
	ds_read_b64 v[14:15], v0
	v_lshlrev_b32_e32 v4, 10, v8
	s_mov_b32 s19, 0
	v_and_b32_e32 v1, 0xffffffe0, v1
	v_sub_nc_u32_e32 v1, v18, v1
	v_add3_u32 v1, v16, v1, v4
	v_ashrrev_i32_e32 v4, 31, v1
	v_add_co_u32 v8, vcc_lo, v1, v96
	v_add_co_ci_u32_e64 v9, null, v4, v97, vcc_lo
	v_add_co_u32 v10, vcc_lo, v1, v98
	v_add_co_ci_u32_e64 v11, null, v4, v99, vcc_lo
	;; [unrolled: 2-line block ×3, first 2 shown]
	s_waitcnt lgkmcnt(0)
	v_add_co_u32 v14, vcc_lo, v14, v1
	v_add_co_ci_u32_e64 v15, null, v15, v4, vcc_lo
.LBB6_593:                              ;   Parent Loop BB6_47 Depth=1
                                        ;     Parent Loop BB6_496 Depth=2
                                        ; =>    This Inner Loop Header: Depth=3
	flat_load_ubyte v1, v[12:13] slc
	flat_load_ubyte v4, v[14:15] slc
	flat_load_ubyte v5, v[12:13] offset:32 slc
	flat_load_ubyte v22, v[14:15] offset:32 slc
	flat_load_ubyte v23, v[12:13] offset:64 slc
	flat_load_ubyte v24, v[14:15] offset:64 slc
	flat_load_ubyte v25, v[12:13] offset:96 slc
	flat_load_ubyte v26, v[14:15] offset:96 slc
	flat_load_ubyte v27, v[12:13] offset:128 slc
	flat_load_ubyte v28, v[14:15] offset:128 slc
	flat_load_ubyte v29, v[12:13] offset:160 slc
	flat_load_ubyte v30, v[14:15] offset:160 slc
	flat_load_ubyte v31, v[12:13] offset:192 slc
	flat_load_ubyte v32, v[14:15] offset:192 slc
	flat_load_ubyte v33, v[12:13] offset:224 slc
	flat_load_ubyte v34, v[14:15] offset:224 slc
	flat_load_ubyte v35, v[12:13] offset:256 slc
	flat_load_ubyte v36, v[14:15] offset:256 slc
	flat_load_ubyte v37, v[12:13] offset:288 slc
	flat_load_ubyte v38, v[14:15] offset:288 slc
	s_clause 0x5
	flat_load_ubyte v39, v[12:13] offset:320 slc
	flat_load_ubyte v66, v[12:13] offset:352 slc
	;; [unrolled: 1-line block ×6, first 2 shown]
	s_clause 0x3
	flat_load_ubyte v98, v[14:15] offset:320 slc
	flat_load_ubyte v99, v[14:15] offset:352 slc
	;; [unrolled: 1-line block ×5, first 2 shown]
	v_sub_nc_u32_e32 v19, v19, v119
	s_waitcnt vmcnt(29) lgkmcnt(29)
	v_mul_lo_u16 v1, v4, v1
	flat_load_ubyte v4, v[12:13] offset:512 slc
	s_waitcnt vmcnt(28) lgkmcnt(28)
	v_mul_lo_u16 v5, v22, v5
	s_waitcnt vmcnt(26) lgkmcnt(26)
	v_mul_lo_u16 v44, v24, v23
	;; [unrolled: 2-line block ×5, first 2 shown]
	flat_load_ubyte v30, v[14:15] offset:416 slc
	s_waitcnt vmcnt(19) lgkmcnt(19)
	v_mul_lo_u16 v22, v32, v31
	flat_load_ubyte v31, v[14:15] offset:448 slc
	s_waitcnt vmcnt(18) lgkmcnt(18)
	v_mul_lo_u16 v23, v34, v33
	s_waitcnt vmcnt(16) lgkmcnt(16)
	v_mul_lo_u16 v24, v36, v35
	flat_load_ubyte v36, v[14:15] offset:512 slc
	s_waitcnt vmcnt(15) lgkmcnt(15)
	v_mul_lo_u16 v25, v38, v37
	flat_load_ubyte v37, v[14:15] offset:544 slc
	flat_load_ubyte v38, v[12:13] offset:576 slc
	s_waitcnt vmcnt(10) lgkmcnt(10)
	v_mul_lo_u16 v26, v98, v39
	s_waitcnt vmcnt(9) lgkmcnt(9)
	v_mul_lo_u16 v27, v99, v66
	s_clause 0x1
	flat_load_ubyte v39, v[12:13] offset:608 slc
	flat_load_ubyte v66, v[12:13] offset:640 slc
	s_waitcnt vmcnt(10) lgkmcnt(10)
	v_mul_lo_u16 v32, v100, v67
	flat_load_ubyte v67, v[14:15] offset:608 slc
	s_waitcnt vmcnt(10) lgkmcnt(10)
	v_mul_lo_u16 v35, v101, v82
	s_waitcnt vmcnt(7) lgkmcnt(7)
	v_mul_lo_u16 v33, v30, v68
	flat_load_ubyte v30, v[12:13] offset:672 slc
	s_waitcnt vmcnt(7) lgkmcnt(7)
	v_mul_lo_u16 v34, v31, v69
	flat_load_ubyte v31, v[14:15] offset:576 slc
	s_waitcnt vmcnt(7) lgkmcnt(7)
	v_mul_lo_u16 v98, v36, v4
	s_clause 0x1
	flat_load_ubyte v4, v[14:15] offset:640 slc
	flat_load_ubyte v36, v[14:15] offset:672 slc
	s_waitcnt vmcnt(8) lgkmcnt(8)
	v_mul_lo_u16 v99, v37, v83
	flat_load_ubyte v37, v[12:13] offset:736 slc
	s_waitcnt vmcnt(5) lgkmcnt(5)
	v_mul_lo_u16 v101, v67, v39
	s_waitcnt vmcnt(3) lgkmcnt(3)
	v_mul_lo_u16 v100, v31, v38
	flat_load_ubyte v31, v[12:13] offset:704 slc
	s_waitcnt vmcnt(3) lgkmcnt(3)
	v_mul_lo_u16 v102, v4, v66
	flat_load_ubyte v4, v[14:15] offset:704 slc
	;; [unrolled: 3-line block ×6, first 2 shown]
	flat_load_ubyte v30, v[14:15] offset:800 slc
	s_waitcnt vmcnt(0) lgkmcnt(0)
	v_mul_lo_u16 v115, v30, v4
	flat_load_ubyte v4, v[12:13] offset:832 slc
	flat_load_ubyte v30, v[14:15] offset:832 slc
	s_waitcnt vmcnt(0) lgkmcnt(0)
	v_mul_lo_u16 v92, v30, v4
	flat_load_ubyte v4, v[12:13] offset:864 slc
	;; [unrolled: 4-line block ×6, first 2 shown]
	flat_load_ubyte v30, v[14:15] offset:992 slc
	v_add_co_u32 v12, vcc_lo, v12, v47
	v_add_co_u32 v14, s16, v14, v47
	v_add_co_ci_u32_e64 v13, null, 0, v13, vcc_lo
	v_add_co_ci_u32_e64 v15, null, 0, v15, s16
	v_cmp_gt_i32_e32 vcc_lo, 1, v19
	s_or_b32 s19, vcc_lo, s19
	s_waitcnt vmcnt(0) lgkmcnt(0)
	v_mul_lo_u16 v105, v30, v4
	flat_store_byte v[8:9], v1 glc slc
	flat_store_byte v[8:9], v5 offset:32 glc slc
	flat_store_byte v[8:9], v44 offset:64 glc slc
	;; [unrolled: 1-line block ×31, first 2 shown]
	flat_store_byte v[10:11], v1 glc slc
	flat_store_byte v[10:11], v5 offset:32 glc slc
	flat_store_byte v[10:11], v44 offset:64 glc slc
	;; [unrolled: 1-line block ×31, first 2 shown]
	v_add_co_u32 v8, s16, v8, v47
	v_add_co_u32 v10, s17, v10, v47
	v_add_co_ci_u32_e64 v9, null, 0, v9, s16
	v_add_co_ci_u32_e64 v11, null, 0, v11, s17
	s_andn2_b32 exec_lo, exec_lo, s19
	s_cbranch_execnz .LBB6_593
; %bb.594:                              ;   in Loop: Header=BB6_496 Depth=2
	s_or_b32 exec_lo, exec_lo, s19
	s_clause 0x1
	buffer_load_dword v114, off, s[0:3], s33 offset:220
	buffer_load_dword v115, off, s[0:3], s33 offset:224
.LBB6_595:                              ;   in Loop: Header=BB6_496 Depth=2
	s_or_b32 exec_lo, exec_lo, s18
	v_lshlrev_b32_e32 v8, 10, v21
	v_cmp_ne_u32_e32 vcc_lo, v17, v8
	s_and_b32 exec_lo, exec_lo, vcc_lo
	s_cbranch_execz .LBB6_601
; %bb.596:                              ;   in Loop: Header=BB6_496 Depth=2
	v_add_nc_u32_e32 v1, v18, v20
	v_lshlrev_b32_e32 v4, 5, v19
	v_and_b32_e32 v1, 0xffffffe0, v1
	v_sub_nc_u32_e32 v1, v18, v1
	v_sub_nc_u32_e32 v1, v1, v4
	v_add_nc_u32_e32 v8, v8, v1
	v_sub_nc_u32_e32 v17, v17, v8
	v_cmp_lt_i32_e32 vcc_lo, 0, v17
	s_and_b32 exec_lo, exec_lo, vcc_lo
	s_cbranch_execz .LBB6_601
; %bb.597:                              ;   in Loop: Header=BB6_496 Depth=2
	s_trap 2
	ds_read_b128 v[9:12], v0
	v_add_nc_u32_e32 v1, v8, v16
	s_mov_b32 s23, 0
	v_ashrrev_i32_e32 v4, 31, v1
	s_waitcnt lgkmcnt(0)
	v_add_co_u32 v8, vcc_lo, v9, v1
	v_add_co_ci_u32_e64 v9, null, v10, v4, vcc_lo
	v_add_co_u32 v10, vcc_lo, v11, v1
	v_add_co_ci_u32_e64 v11, null, v12, v4, vcc_lo
	v_mov_b32_e32 v13, v9
	v_mov_b32_e32 v12, v8
	;; [unrolled: 1-line block ×4, first 2 shown]
.LBB6_598:                              ;   Parent Loop BB6_47 Depth=1
                                        ;     Parent Loop BB6_496 Depth=2
                                        ; =>    This Loop Header: Depth=3
                                        ;         Child Loop BB6_599 Depth 4
	flat_load_ubyte v1, v[12:13] slc
	flat_load_ubyte v4, v[14:15] slc
	s_mov_b64 s[18:19], 0
	s_mov_b32 s72, -1
	s_waitcnt vmcnt(0) lgkmcnt(0)
	v_mul_lo_u16 v16, v4, v1
	.p2align	6
.LBB6_599:                              ;   Parent Loop BB6_47 Depth=1
                                        ;     Parent Loop BB6_496 Depth=2
                                        ;       Parent Loop BB6_598 Depth=3
                                        ; =>      This Inner Loop Header: Depth=4
	s_cmp_eq_u32 s18, 1
	s_cselect_b32 vcc_lo, -1, 0
	s_cmp_eq_u32 s18, 0
	v_cndmask_b32_e32 v18, v8, v10, vcc_lo
	v_cndmask_b32_e32 v19, v9, v11, vcc_lo
	s_mov_b64 s[18:19], 1
	v_add_co_u32 v1, s16, v18, 32
	v_add_co_ci_u32_e64 v4, null, 0, v19, s16
	s_cselect_b32 s16, -1, 0
	v_cndmask_b32_e32 v10, v10, v1, vcc_lo
	v_cndmask_b32_e64 v8, v8, v1, s16
	v_cndmask_b32_e32 v11, v11, v4, vcc_lo
	v_cndmask_b32_e64 v9, v9, v4, s16
	s_and_b32 s17, exec_lo, s72
	s_mov_b32 s72, 0
	s_mov_b32 vcc_lo, s17
	flat_store_byte v[18:19], v16 glc slc
	s_cbranch_vccnz .LBB6_599
; %bb.600:                              ;   in Loop: Header=BB6_598 Depth=3
	v_add_co_u32 v12, vcc_lo, v12, v63
	v_sub_nc_u32_e32 v17, v17, v40
	v_add_co_ci_u32_e64 v13, null, v13, v72, vcc_lo
	v_add_co_u32 v14, vcc_lo, v14, v63
	v_add_co_ci_u32_e64 v15, null, v15, v72, vcc_lo
	v_add_co_u32 v8, vcc_lo, v8, v57
	v_add_co_ci_u32_e64 v9, null, v9, v59, vcc_lo
	v_cmp_gt_i32_e32 vcc_lo, 1, v17
	v_add_co_u32 v10, s16, v10, v57
	v_add_co_ci_u32_e64 v11, null, v11, v59, s16
	s_or_b32 s23, vcc_lo, s23
	s_andn2_b32 exec_lo, exec_lo, s23
	s_cbranch_execnz .LBB6_598
.LBB6_601:                              ;   in Loop: Header=BB6_496 Depth=2
	s_or_b32 exec_lo, exec_lo, s22
	s_mov_b32 s16, 0
.LBB6_602:                              ;   in Loop: Header=BB6_496 Depth=2
	s_and_b32 vcc_lo, exec_lo, s16
	s_cbranch_vccz .LBB6_631
; %bb.603:                              ;   in Loop: Header=BB6_496 Depth=2
	s_mov_b32 s16, -1
	s_and_saveexec_b32 s17, s15
	s_cbranch_execz .LBB6_605
; %bb.604:                              ;   in Loop: Header=BB6_496 Depth=2
	ds_read_b32 v8, v0 offset:720
	s_waitcnt lgkmcnt(0)
	v_and_b32_e32 v8, 15, v8
	v_cmp_eq_u32_e32 vcc_lo, 0, v8
	s_orn2_b32 s16, vcc_lo, exec_lo
.LBB6_605:                              ;   in Loop: Header=BB6_496 Depth=2
	s_or_b32 exec_lo, exec_lo, s17
	s_and_saveexec_b32 s17, s12
	s_cbranch_execz .LBB6_607
; %bb.606:                              ;   in Loop: Header=BB6_496 Depth=2
	ds_read_b32 v8, v0 offset:784
	s_waitcnt lgkmcnt(0)
	v_and_b32_e32 v8, 15, v8
	v_cmp_eq_u32_e32 vcc_lo, 0, v8
	s_and_b32 s18, s16, vcc_lo
	s_andn2_b32 s16, s16, exec_lo
	s_and_b32 s18, s18, exec_lo
	s_or_b32 s16, s16, s18
.LBB6_607:                              ;   in Loop: Header=BB6_496 Depth=2
	s_or_b32 exec_lo, exec_lo, s17
	s_xor_b32 s16, s16, -1
	v_mov_b32_e32 v5, 0
	v_cndmask_b32_e64 v8, 0, 1, s16
	v_mov_b32_e32 v15, v91
	v_mov_b32_e32 v16, v0
	s_mov_b32 s16, -1
	v_cmp_ne_u32_e32 vcc_lo, 0, v8
	v_mov_b32_e32 v8, v60
	s_cbranch_vccz .LBB6_609
; %bb.608:                              ;   in Loop: Header=BB6_496 Depth=2
	s_and_saveexec_b32 s17, s16
	s_cbranch_execnz .LBB6_622
	s_branch .LBB6_630
.LBB6_609:                              ;   in Loop: Header=BB6_496 Depth=2
	v_ashrrev_i32_e32 v8, 31, v91
	s_mov_b32 s16, exec_lo
	v_lshrrev_b32_e32 v8, 21, v8
	v_add_nc_u32_e32 v8, v91, v8
	v_ashrrev_i32_e32 v113, 11, v8
	v_sub_nc_u32_e32 v112, v113, v60
	v_cmpx_lt_i32_e32 0, v112
	s_cbranch_execz .LBB6_613
; %bb.610:                              ;   in Loop: Header=BB6_496 Depth=2
	s_trap 2
	s_clause 0x1
	buffer_load_dword v1, off, s[0:3], s33 offset:208
	buffer_load_dword v4, off, s[0:3], s33 offset:212
	ds_read_b64 v[8:9], v0
	s_mov_b32 s17, 0
	s_waitcnt vmcnt(1)
	v_add_co_u32 v98, vcc_lo, v85, v1
	s_waitcnt vmcnt(0)
	v_add_co_ci_u32_e64 v99, null, v86, v4, vcc_lo
	s_waitcnt lgkmcnt(0)
	v_add_co_u32 v100, vcc_lo, v8, v1
	v_add_co_ci_u32_e64 v101, null, v9, v4, vcc_lo
	v_add_co_u32 v102, vcc_lo, v96, v1
	v_add_co_ci_u32_e64 v103, null, v97, v4, vcc_lo
.LBB6_611:                              ;   Parent Loop BB6_47 Depth=1
                                        ;     Parent Loop BB6_496 Depth=2
                                        ; =>    This Inner Loop Header: Depth=3
	s_clause 0x3
	global_load_dwordx4 v[16:19], v[98:99], off slc
	global_load_dwordx4 v[32:35], v[98:99], off offset:512 slc
	global_load_dwordx4 v[20:23], v[98:99], off offset:1024 slc
	;; [unrolled: 1-line block ×3, first 2 shown]
	s_clause 0x3
	global_load_dwordx4 v[92:95], v[100:101], off slc
	global_load_dwordx4 v[104:107], v[100:101], off offset:512 slc
	global_load_dwordx4 v[24:27], v[100:101], off offset:1024 slc
	global_load_dwordx4 v[12:15], v[100:101], off offset:1536 slc
	v_add_co_u32 v98, vcc_lo, v98, v56
	v_sub_nc_u32_e32 v112, v112, v119
	v_add_co_ci_u32_e64 v99, null, 0, v99, vcc_lo
	v_add_co_u32 v100, vcc_lo, v100, v56
	v_add_co_ci_u32_e64 v101, null, 0, v101, vcc_lo
	s_waitcnt vmcnt(7)
	v_lshlrev_b32_sdwa v114, v43, v16 dst_sel:DWORD dst_unused:UNUSED_PAD src0_sel:DWORD src1_sel:BYTE_3
	v_and_b32_e32 v108, 0xff00, v16
	s_waitcnt vmcnt(3)
	v_lshrrev_b32_e32 v109, 8, v92
	v_mul_lo_u32 v115, v92, v16
	v_mul_u32_u24_sdwa v16, v92, v16 dst_sel:DWORD dst_unused:UNUSED_PAD src0_sel:WORD_1 src1_sel:WORD_1
	v_mul_u32_u24_sdwa v114, v92, v114 dst_sel:DWORD dst_unused:UNUSED_PAD src0_sel:BYTE_3 src1_sel:DWORD
	v_and_b32_e32 v92, 0xff00, v17
	v_mul_u32_u24_e32 v108, v109, v108
	v_perm_b32 v16, v114, v16, 0xc0c0500
	v_lshlrev_b32_sdwa v114, v43, v17 dst_sel:DWORD dst_unused:UNUSED_PAD src0_sel:DWORD src1_sel:BYTE_3
	v_perm_b32 v115, v108, v115, 0xc0c0500
	v_lshrrev_b32_e32 v108, 8, v93
	v_mul_u32_u24_sdwa v114, v93, v114 dst_sel:DWORD dst_unused:UNUSED_PAD src0_sel:BYTE_3 src1_sel:DWORD
	v_lshl_or_b32 v16, v16, 16, v115
	v_mul_lo_u32 v115, v93, v17
	v_mul_u32_u24_e32 v92, v108, v92
	v_mul_u32_u24_sdwa v17, v93, v17 dst_sel:DWORD dst_unused:UNUSED_PAD src0_sel:WORD_1 src1_sel:WORD_1
	v_lshrrev_b32_e32 v93, 8, v94
	v_perm_b32 v17, v114, v17, 0xc0c0500
	v_perm_b32 v115, v92, v115, 0xc0c0500
	v_lshlrev_b32_sdwa v114, v43, v18 dst_sel:DWORD dst_unused:UNUSED_PAD src0_sel:DWORD src1_sel:BYTE_3
	v_and_b32_e32 v92, 0xff00, v18
	v_lshl_or_b32 v17, v17, 16, v115
	v_mul_lo_u32 v115, v94, v18
	v_mul_u32_u24_e32 v92, v93, v92
	v_mul_u32_u24_sdwa v18, v94, v18 dst_sel:DWORD dst_unused:UNUSED_PAD src0_sel:WORD_1 src1_sel:WORD_1
	v_mul_u32_u24_sdwa v114, v94, v114 dst_sel:DWORD dst_unused:UNUSED_PAD src0_sel:BYTE_3 src1_sel:DWORD
	v_lshrrev_b32_e32 v93, 8, v95
	v_perm_b32 v18, v114, v18, 0xc0c0500
	v_perm_b32 v115, v92, v115, 0xc0c0500
	v_lshlrev_b32_sdwa v114, v43, v19 dst_sel:DWORD dst_unused:UNUSED_PAD src0_sel:DWORD src1_sel:BYTE_3
	v_and_b32_e32 v92, 0xff00, v19
	v_lshl_or_b32 v18, v18, 16, v115
	v_mul_lo_u32 v115, v95, v19
	v_mul_u32_u24_e32 v92, v93, v92
	v_mul_u32_u24_sdwa v19, v95, v19 dst_sel:DWORD dst_unused:UNUSED_PAD src0_sel:WORD_1 src1_sel:WORD_1
	v_mul_u32_u24_sdwa v114, v95, v114 dst_sel:DWORD dst_unused:UNUSED_PAD src0_sel:BYTE_3 src1_sel:DWORD
	s_waitcnt vmcnt(2)
	v_lshrrev_b32_e32 v93, 8, v104
	v_perm_b32 v115, v92, v115, 0xc0c0500
	v_perm_b32 v19, v114, v19, 0xc0c0500
	v_lshlrev_b32_sdwa v114, v43, v32 dst_sel:DWORD dst_unused:UNUSED_PAD src0_sel:DWORD src1_sel:BYTE_3
	v_and_b32_e32 v92, 0xff00, v32
	v_lshl_or_b32 v19, v19, 16, v115
	v_mul_lo_u32 v115, v104, v32
	v_mul_u32_u24_e32 v92, v93, v92
	v_mul_u32_u24_sdwa v32, v104, v32 dst_sel:DWORD dst_unused:UNUSED_PAD src0_sel:WORD_1 src1_sel:WORD_1
	v_mul_u32_u24_sdwa v114, v104, v114 dst_sel:DWORD dst_unused:UNUSED_PAD src0_sel:BYTE_3 src1_sel:DWORD
	v_lshrrev_b32_e32 v93, 8, v105
	v_perm_b32 v115, v92, v115, 0xc0c0500
	v_perm_b32 v32, v114, v32, 0xc0c0500
	v_lshlrev_b32_sdwa v114, v43, v33 dst_sel:DWORD dst_unused:UNUSED_PAD src0_sel:DWORD src1_sel:BYTE_3
	v_and_b32_e32 v92, 0xff00, v33
	v_lshl_or_b32 v32, v32, 16, v115
	v_mul_lo_u32 v115, v105, v33
	v_mul_u32_u24_e32 v92, v93, v92
	v_mul_u32_u24_sdwa v33, v105, v33 dst_sel:DWORD dst_unused:UNUSED_PAD src0_sel:WORD_1 src1_sel:WORD_1
	v_mul_u32_u24_sdwa v114, v105, v114 dst_sel:DWORD dst_unused:UNUSED_PAD src0_sel:BYTE_3 src1_sel:DWORD
	;; [unrolled: 10-line block ×4, first 2 shown]
	s_waitcnt vmcnt(1)
	v_lshrrev_b32_e32 v93, 8, v24
	v_perm_b32 v115, v92, v115, 0xc0c0500
	v_perm_b32 v35, v114, v35, 0xc0c0500
	v_lshlrev_b32_sdwa v114, v43, v20 dst_sel:DWORD dst_unused:UNUSED_PAD src0_sel:DWORD src1_sel:BYTE_3
	v_and_b32_e32 v92, 0xff00, v20
	v_lshl_or_b32 v35, v35, 16, v115
	v_mul_lo_u32 v115, v24, v20
	v_mul_u32_u24_e32 v92, v93, v92
	v_mul_u32_u24_sdwa v20, v24, v20 dst_sel:DWORD dst_unused:UNUSED_PAD src0_sel:WORD_1 src1_sel:WORD_1
	v_mul_u32_u24_sdwa v24, v24, v114 dst_sel:DWORD dst_unused:UNUSED_PAD src0_sel:BYTE_3 src1_sel:DWORD
	v_mul_lo_u32 v114, v25, v21
	v_perm_b32 v115, v92, v115, 0xc0c0500
	v_perm_b32 v20, v24, v20, 0xc0c0500
	v_lshlrev_b32_sdwa v24, v43, v21 dst_sel:DWORD dst_unused:UNUSED_PAD src0_sel:DWORD src1_sel:BYTE_3
	v_lshrrev_b32_e32 v92, 8, v25
	v_lshl_or_b32 v20, v20, 16, v115
	v_and_b32_e32 v115, 0xff00, v21
	v_mul_u32_u24_sdwa v21, v25, v21 dst_sel:DWORD dst_unused:UNUSED_PAD src0_sel:WORD_1 src1_sel:WORD_1
	v_mul_u32_u24_sdwa v24, v25, v24 dst_sel:DWORD dst_unused:UNUSED_PAD src0_sel:BYTE_3 src1_sel:DWORD
	v_mul_lo_u32 v25, v26, v22
	v_mul_u32_u24_e32 v115, v92, v115
	v_perm_b32 v21, v24, v21, 0xc0c0500
	v_lshlrev_b32_sdwa v24, v43, v22 dst_sel:DWORD dst_unused:UNUSED_PAD src0_sel:DWORD src1_sel:BYTE_3
	v_perm_b32 v114, v115, v114, 0xc0c0500
	v_lshrrev_b32_e32 v115, 8, v26
	v_mul_u32_u24_sdwa v24, v26, v24 dst_sel:DWORD dst_unused:UNUSED_PAD src0_sel:BYTE_3 src1_sel:DWORD
	v_lshl_or_b32 v21, v21, 16, v114
	v_and_b32_e32 v114, 0xff00, v22
	v_mul_u32_u24_sdwa v22, v26, v22 dst_sel:DWORD dst_unused:UNUSED_PAD src0_sel:WORD_1 src1_sel:WORD_1
	v_and_b32_e32 v26, 0xff00, v23
	v_mul_u32_u24_e32 v114, v115, v114
	v_perm_b32 v22, v24, v22, 0xc0c0500
	v_lshlrev_b32_sdwa v24, v43, v23 dst_sel:DWORD dst_unused:UNUSED_PAD src0_sel:DWORD src1_sel:BYTE_3
	v_perm_b32 v25, v114, v25, 0xc0c0500
	v_lshrrev_b32_e32 v114, 8, v27
	v_mul_u32_u24_sdwa v24, v27, v24 dst_sel:DWORD dst_unused:UNUSED_PAD src0_sel:BYTE_3 src1_sel:DWORD
	v_lshl_or_b32 v22, v22, 16, v25
	v_mul_lo_u32 v25, v27, v23
	v_mul_u32_u24_e32 v26, v114, v26
	v_mul_u32_u24_sdwa v23, v27, v23 dst_sel:DWORD dst_unused:UNUSED_PAD src0_sel:WORD_1 src1_sel:WORD_1
	s_waitcnt vmcnt(0)
	v_lshrrev_b32_e32 v27, 8, v12
	v_perm_b32 v23, v24, v23, 0xc0c0500
	v_perm_b32 v25, v26, v25, 0xc0c0500
	v_lshlrev_b32_sdwa v24, v43, v8 dst_sel:DWORD dst_unused:UNUSED_PAD src0_sel:DWORD src1_sel:BYTE_3
	v_and_b32_e32 v26, 0xff00, v8
	v_lshl_or_b32 v23, v23, 16, v25
	v_mul_lo_u32 v25, v12, v8
	v_mul_u32_u24_e32 v26, v27, v26
	v_mul_u32_u24_sdwa v8, v12, v8 dst_sel:DWORD dst_unused:UNUSED_PAD src0_sel:WORD_1 src1_sel:WORD_1
	v_mul_u32_u24_sdwa v12, v12, v24 dst_sel:DWORD dst_unused:UNUSED_PAD src0_sel:BYTE_3 src1_sel:DWORD
	v_mul_lo_u32 v24, v13, v9
	v_perm_b32 v25, v26, v25, 0xc0c0500
	v_perm_b32 v8, v12, v8, 0xc0c0500
	v_lshlrev_b32_sdwa v12, v43, v9 dst_sel:DWORD dst_unused:UNUSED_PAD src0_sel:DWORD src1_sel:BYTE_3
	v_lshrrev_b32_e32 v26, 8, v13
	v_lshl_or_b32 v8, v8, 16, v25
	v_and_b32_e32 v25, 0xff00, v9
	v_mul_u32_u24_sdwa v9, v13, v9 dst_sel:DWORD dst_unused:UNUSED_PAD src0_sel:WORD_1 src1_sel:WORD_1
	v_mul_u32_u24_sdwa v12, v13, v12 dst_sel:DWORD dst_unused:UNUSED_PAD src0_sel:BYTE_3 src1_sel:DWORD
	v_mul_lo_u32 v13, v14, v10
	v_mul_u32_u24_e32 v25, v26, v25
	v_perm_b32 v9, v12, v9, 0xc0c0500
	v_lshlrev_b32_sdwa v12, v43, v10 dst_sel:DWORD dst_unused:UNUSED_PAD src0_sel:DWORD src1_sel:BYTE_3
	v_perm_b32 v24, v25, v24, 0xc0c0500
	v_lshrrev_b32_e32 v25, 8, v14
	v_mul_u32_u24_sdwa v12, v14, v12 dst_sel:DWORD dst_unused:UNUSED_PAD src0_sel:BYTE_3 src1_sel:DWORD
	v_lshl_or_b32 v9, v9, 16, v24
	v_and_b32_e32 v24, 0xff00, v10
	v_mul_u32_u24_sdwa v10, v14, v10 dst_sel:DWORD dst_unused:UNUSED_PAD src0_sel:WORD_1 src1_sel:WORD_1
	v_and_b32_e32 v14, 0xff00, v11
	v_mul_u32_u24_e32 v24, v25, v24
	v_perm_b32 v10, v12, v10, 0xc0c0500
	v_lshlrev_b32_sdwa v12, v43, v11 dst_sel:DWORD dst_unused:UNUSED_PAD src0_sel:DWORD src1_sel:BYTE_3
	v_perm_b32 v13, v24, v13, 0xc0c0500
	v_lshrrev_b32_e32 v24, 8, v15
	v_mul_u32_u24_sdwa v12, v15, v12 dst_sel:DWORD dst_unused:UNUSED_PAD src0_sel:BYTE_3 src1_sel:DWORD
	v_lshl_or_b32 v10, v10, 16, v13
	v_mul_lo_u32 v13, v15, v11
	v_mul_u32_u24_e32 v14, v24, v14
	v_mul_u32_u24_sdwa v11, v15, v11 dst_sel:DWORD dst_unused:UNUSED_PAD src0_sel:WORD_1 src1_sel:WORD_1
	v_perm_b32 v11, v12, v11, 0xc0c0500
	v_perm_b32 v13, v14, v13, 0xc0c0500
	v_lshl_or_b32 v11, v11, 16, v13
	global_store_dwordx4 v[102:103], v[16:19], off glc slc
	global_store_dwordx4 v[102:103], v[32:35], off offset:512 glc slc
	global_store_dwordx4 v[102:103], v[20:23], off offset:1024 glc slc
	;; [unrolled: 1-line block ×3, first 2 shown]
	v_add_co_u32 v102, vcc_lo, v102, v56
	v_add_co_ci_u32_e64 v103, null, 0, v103, vcc_lo
	v_cmp_gt_i32_e32 vcc_lo, 1, v112
	s_or_b32 s17, vcc_lo, s17
	s_andn2_b32 exec_lo, exec_lo, s17
	s_cbranch_execnz .LBB6_611
; %bb.612:                              ;   in Loop: Header=BB6_496 Depth=2
	s_or_b32 exec_lo, exec_lo, s17
	s_clause 0x1
	buffer_load_dword v114, off, s[0:3], s33 offset:220
	buffer_load_dword v115, off, s[0:3], s33 offset:224
.LBB6_613:                              ;   in Loop: Header=BB6_496 Depth=2
	s_or_b32 exec_lo, exec_lo, s16
	v_lshlrev_b32_e32 v17, 11, v113
	v_mov_b32_e32 v5, 0
	s_mov_b32 s16, 0
	s_mov_b32 s18, exec_lo
                                        ; implicit-def: $vgpr15
                                        ; implicit-def: $vgpr16
                                        ; implicit-def: $vgpr8
	v_cmpx_ne_u32_e64 v91, v17
	s_cbranch_execz .LBB6_621
; %bb.614:                              ;   in Loop: Header=BB6_496 Depth=2
	buffer_load_dword v1, off, s[0:3], s33 offset:188 ; 4-byte Folded Reload
	v_lshlrev_b32_e32 v8, 5, v112
	v_sub_nc_u32_e32 v10, v91, v17
	s_mov_b32 s19, exec_lo
	v_ashrrev_i32_e32 v11, 31, v10
	v_lshrrev_b32_e32 v11, 23, v11
	v_add_nc_u32_e32 v11, v10, v11
	v_and_b32_e32 v18, 0xfffffe00, v11
	v_ashrrev_i32_e32 v11, 9, v11
	v_sub_nc_u32_e32 v20, v10, v18
	v_cmp_lt_i32_e32 vcc_lo, 15, v20
	v_add_co_ci_u32_e64 v11, null, 0, v11, vcc_lo
	s_waitcnt vmcnt(0)
	v_sub_nc_u32_e32 v8, v1, v8
	v_ashrrev_i32_e32 v9, 31, v8
	v_lshrrev_b32_e32 v9, 27, v9
	v_add_nc_u32_e32 v9, v8, v9
	v_and_b32_e32 v12, 0xffffffe0, v9
	v_ashrrev_i32_e32 v9, 5, v9
	v_sub_nc_u32_e32 v19, v8, v12
	v_sub_nc_u32_e32 v21, v11, v9
	v_lshlrev_b32_e32 v8, 4, v19
	v_lshl_add_u32 v8, v9, 9, v8
	v_sub_nc_u32_e32 v14, v10, v8
	v_cmpx_lt_i32_e32 15, v14
	s_cbranch_execz .LBB6_618
; %bb.615:                              ;   in Loop: Header=BB6_496 Depth=2
	s_trap 2
	ds_read_b64 v[10:11], v0
	v_add_nc_u32_e32 v12, v8, v17
	s_mov_b32 s22, 0
	v_ashrrev_i32_e32 v13, 31, v12
	v_add_co_u32 v8, s16, v12, v85
	v_add_co_ci_u32_e64 v9, null, v13, v86, s16
	s_waitcnt lgkmcnt(0)
	v_add_co_u32 v10, s16, v10, v12
	v_add_co_ci_u32_e64 v11, null, v11, v13, s16
	v_add_co_u32 v12, s16, v12, v96
	v_add_co_ci_u32_e64 v13, null, v13, v97, s16
.LBB6_616:                              ;   Parent Loop BB6_47 Depth=1
                                        ;     Parent Loop BB6_496 Depth=2
                                        ; =>    This Inner Loop Header: Depth=3
	global_load_dwordx4 v[22:25], v[10:11], off slc
	global_load_dwordx4 v[32:35], v[8:9], off slc
	v_sub_nc_u32_e32 v14, v14, v46
	v_add_co_u32 v8, s16, v8, v46
	v_add_co_ci_u32_e64 v9, null, 0, v9, s16
	v_add_co_u32 v10, s16, v10, v46
	v_add_co_ci_u32_e64 v11, null, 0, v11, s16
	v_cmp_gt_i32_e64 s16, 16, v14
	v_sub_nc_u32_e32 v21, v21, v119
	s_or_b32 s22, s16, s22
	s_waitcnt vmcnt(1)
	v_lshrrev_b32_e32 v15, 8, v22
	v_lshrrev_b32_e32 v16, 8, v23
	;; [unrolled: 1-line block ×4, first 2 shown]
	s_waitcnt vmcnt(0)
	v_lshlrev_b32_sdwa v98, v43, v32 dst_sel:DWORD dst_unused:UNUSED_PAD src0_sel:DWORD src1_sel:BYTE_3
	v_and_b32_e32 v100, 0xff00, v32
	v_lshlrev_b32_sdwa v101, v43, v33 dst_sel:DWORD dst_unused:UNUSED_PAD src0_sel:DWORD src1_sel:BYTE_3
	v_and_b32_e32 v103, 0xff00, v33
	;; [unrolled: 2-line block ×4, first 2 shown]
	v_mul_lo_u32 v99, v22, v32
	v_mul_lo_u32 v102, v23, v33
	;; [unrolled: 1-line block ×4, first 2 shown]
	v_mul_u32_u24_sdwa v32, v22, v32 dst_sel:DWORD dst_unused:UNUSED_PAD src0_sel:WORD_1 src1_sel:WORD_1
	v_mul_u32_u24_sdwa v33, v23, v33 dst_sel:DWORD dst_unused:UNUSED_PAD src0_sel:WORD_1 src1_sel:WORD_1
	v_mul_u32_u24_sdwa v34, v24, v34 dst_sel:DWORD dst_unused:UNUSED_PAD src0_sel:WORD_1 src1_sel:WORD_1
	v_mul_u32_u24_sdwa v35, v25, v35 dst_sel:DWORD dst_unused:UNUSED_PAD src0_sel:WORD_1 src1_sel:WORD_1
	v_mul_u32_u24_e32 v15, v15, v100
	v_mul_u32_u24_sdwa v22, v22, v98 dst_sel:DWORD dst_unused:UNUSED_PAD src0_sel:BYTE_3 src1_sel:DWORD
	v_mul_u32_u24_e32 v16, v16, v103
	v_mul_u32_u24_sdwa v23, v23, v101 dst_sel:DWORD dst_unused:UNUSED_PAD src0_sel:BYTE_3 src1_sel:DWORD
	;; [unrolled: 2-line block ×4, first 2 shown]
	v_perm_b32 v15, v15, v99, 0xc0c0500
	v_perm_b32 v22, v22, v32, 0xc0c0500
	;; [unrolled: 1-line block ×8, first 2 shown]
	v_lshl_or_b32 v22, v22, 16, v15
	v_lshl_or_b32 v23, v23, 16, v16
	;; [unrolled: 1-line block ×4, first 2 shown]
	global_store_dwordx4 v[12:13], v[22:25], off glc slc
	v_add_co_u32 v12, s17, v12, v46
	v_add_co_ci_u32_e64 v13, null, 0, v13, s17
	s_andn2_b32 exec_lo, exec_lo, s22
	s_cbranch_execnz .LBB6_616
; %bb.617:                              ;   in Loop: Header=BB6_496 Depth=2
	s_or_b32 exec_lo, exec_lo, s22
	s_clause 0x1
	buffer_load_dword v114, off, s[0:3], s33 offset:220
	buffer_load_dword v115, off, s[0:3], s33 offset:224
.LBB6_618:                              ;   in Loop: Header=BB6_496 Depth=2
	s_or_b32 exec_lo, exec_lo, s19
	v_and_b32_e32 v9, 15, v91
	v_mov_b32_e32 v5, 0
	s_mov_b32 s17, 0
	s_mov_b32 s19, exec_lo
                                        ; implicit-def: $vgpr16
                                        ; implicit-def: $vgpr8
	v_cndmask_b32_e32 v15, v20, v9, vcc_lo
	v_cmpx_ne_u32_e32 0, v15
	s_cbranch_execz .LBB6_620
; %bb.619:                              ;   in Loop: Header=BB6_496 Depth=2
	v_cmp_lt_i32_e64 s16, 0, v21
	v_sub_nc_u32_e32 v9, v20, v9
	s_mov_b32 s17, exec_lo
	v_cndmask_b32_e64 v8, 0, v119, s16
	v_cndmask_b32_e32 v9, 0, v9, vcc_lo
	v_sub_nc_u32_e32 v8, v8, v21
	v_add3_u32 v5, v18, v17, v9
	v_lshl_add_u32 v16, v8, 5, v19
	v_ashrrev_i32_e32 v8, 31, v16
	v_lshrrev_b32_e32 v8, 27, v8
	v_add_nc_u32_e32 v8, v16, v8
	v_ashrrev_i32_e32 v8, 5, v8
.LBB6_620:                              ;   in Loop: Header=BB6_496 Depth=2
	s_or_b32 exec_lo, exec_lo, s19
	s_and_b32 s16, s17, exec_lo
.LBB6_621:                              ;   in Loop: Header=BB6_496 Depth=2
	s_or_b32 exec_lo, exec_lo, s18
	s_and_saveexec_b32 s17, s16
	s_cbranch_execz .LBB6_630
.LBB6_622:                              ;   in Loop: Header=BB6_496 Depth=2
	v_ashrrev_i32_e32 v9, 31, v15
	s_mov_b32 s16, exec_lo
	v_lshrrev_b32_e32 v9, 22, v9
	v_add_nc_u32_e32 v9, v15, v9
	v_ashrrev_i32_e32 v1, 10, v9
	v_sub_nc_u32_e32 v17, v1, v8
	v_cmpx_lt_i32_e32 0, v17
	s_cbranch_execz .LBB6_626
; %bb.623:                              ;   in Loop: Header=BB6_496 Depth=2
	v_ashrrev_i32_e32 v9, 31, v16
	buffer_store_dword v1, off, s[0:3], s33 offset:240 ; 4-byte Folded Spill
	s_trap 2
	ds_read_b64 v[10:11], v0
	v_lshlrev_b32_e32 v8, 10, v8
	v_lshrrev_b32_e32 v9, 27, v9
	v_add_co_u32 v19, vcc_lo, 0x3e0, v96
	v_add_co_ci_u32_e64 v20, null, 0, v97, vcc_lo
	v_add_nc_u32_e32 v9, v16, v9
	s_mov_b32 s18, 0
	buffer_store_dword v5, off, s[0:3], s33 offset:236 ; 4-byte Folded Spill
	v_and_b32_e32 v9, 0xffffffe0, v9
	v_sub_nc_u32_e32 v9, v16, v9
	v_add3_u32 v12, v5, v9, v8
	v_ashrrev_i32_e32 v13, 31, v12
	v_add_co_u32 v8, vcc_lo, v12, v85
	v_add_co_ci_u32_e64 v9, null, v13, v86, vcc_lo
	s_waitcnt lgkmcnt(0)
	v_add_co_u32 v10, vcc_lo, v10, v12
	v_add_co_ci_u32_e64 v11, null, v11, v13, vcc_lo
	v_add_co_u32 v12, vcc_lo, v19, v12
	v_add_co_ci_u32_e64 v13, null, v20, v13, vcc_lo
.LBB6_624:                              ;   Parent Loop BB6_47 Depth=1
                                        ;     Parent Loop BB6_496 Depth=2
                                        ; =>    This Inner Loop Header: Depth=3
	s_clause 0x12
	flat_load_ubyte v19, v[8:9] slc
	flat_load_ubyte v20, v[8:9] offset:32 slc
	flat_load_ubyte v21, v[8:9] offset:64 slc
	;; [unrolled: 1-line block ×18, first 2 shown]
	s_waitcnt vmcnt(20)
	flat_load_ubyte v114, v[8:9] offset:608 slc
	s_waitcnt vmcnt(20)
	s_clause 0xb
	flat_load_ubyte v115, v[8:9] offset:640 slc
	flat_load_ubyte v92, v[8:9] offset:672 slc
	;; [unrolled: 1-line block ×12, first 2 shown]
	s_clause 0x1f
	flat_load_ubyte v97, v[10:11] slc
	flat_load_ubyte v98, v[10:11] offset:32 slc
	flat_load_ubyte v99, v[10:11] offset:64 slc
	;; [unrolled: 1-line block ×31, first 2 shown]
	v_sub_nc_u32_e32 v17, v17, v119
	s_waitcnt vmcnt(31) lgkmcnt(31)
	v_mul_lo_u16 v83, v97, v19
	s_waitcnt vmcnt(30) lgkmcnt(30)
	v_mul_lo_u16 v89, v98, v20
	;; [unrolled: 2-line block ×18, first 2 shown]
	v_add_co_u32 v112, vcc_lo, 0xfffffc20, v12
	s_waitcnt vmcnt(13) lgkmcnt(13)
	v_mul_lo_u16 v85, v39, v113
	v_add_co_ci_u32_e64 v113, null, -1, v13, vcc_lo
	s_waitcnt vmcnt(12) lgkmcnt(12)
	v_mul_lo_u16 v35, v28, v114
	s_waitcnt vmcnt(11) lgkmcnt(11)
	v_mul_lo_u16 v34, v29, v115
	s_waitcnt vmcnt(10) lgkmcnt(10)
	v_mul_lo_u16 v33, v68, v92
	flat_store_byte v[112:113], v83 glc slc
	v_add_co_u32 v112, vcc_lo, 0xfffffc40, v12
	v_add_co_ci_u32_e64 v113, null, -1, v13, vcc_lo
	s_waitcnt vmcnt(9) lgkmcnt(10)
	v_mul_lo_u16 v32, v69, v93
	s_waitcnt vmcnt(8) lgkmcnt(9)
	v_mul_lo_u16 v27, v4, v94
	s_waitcnt vmcnt(7) lgkmcnt(8)
	v_mul_lo_u16 v26, v5, v95
	flat_store_byte v[112:113], v89 glc slc
	v_add_co_u32 v112, vcc_lo, 0xfffffc60, v12
	;; [unrolled: 9-line block ×4, first 2 shown]
	v_add_co_ci_u32_e64 v113, null, -1, v13, vcc_lo
	s_waitcnt vmcnt(0) lgkmcnt(4)
	v_mul_lo_u16 v20, v82, v110
	flat_store_byte v[112:113], v18 glc slc
	v_add_co_u32 v112, vcc_lo, 0xfffffcc0, v12
	v_add_co_ci_u32_e64 v113, null, -1, v13, vcc_lo
	flat_store_byte v[112:113], v14 glc slc
	v_add_co_u32 v112, vcc_lo, 0xfffffce0, v12
	v_add_co_ci_u32_e64 v113, null, -1, v13, vcc_lo
	;; [unrolled: 3-line block ×26, first 2 shown]
	v_add_co_u32 v8, vcc_lo, v8, v47
	v_add_co_ci_u32_e64 v9, null, 0, v9, vcc_lo
	v_add_co_u32 v10, vcc_lo, v10, v47
	flat_store_byte v[21:22], v19 glc slc
	flat_store_byte v[12:13], v20 glc slc
	v_add_co_ci_u32_e64 v11, null, 0, v11, vcc_lo
	v_add_co_u32 v12, vcc_lo, v12, v47
	v_add_co_ci_u32_e64 v13, null, 0, v13, vcc_lo
	v_cmp_gt_i32_e32 vcc_lo, 1, v17
	s_or_b32 s18, vcc_lo, s18
	s_andn2_b32 exec_lo, exec_lo, s18
	s_cbranch_execnz .LBB6_624
; %bb.625:                              ;   in Loop: Header=BB6_496 Depth=2
	s_or_b32 exec_lo, exec_lo, s18
	s_clause 0x4
	buffer_load_dword v114, off, s[0:3], s33 offset:220
	buffer_load_dword v115, off, s[0:3], s33 offset:224
	;; [unrolled: 1-line block ×5, first 2 shown]
.LBB6_626:                              ;   in Loop: Header=BB6_496 Depth=2
	s_or_b32 exec_lo, exec_lo, s16
	s_waitcnt vmcnt(0)
	v_lshlrev_b32_e32 v8, 10, v1
	v_cmp_ne_u32_e32 vcc_lo, v15, v8
	s_and_b32 exec_lo, exec_lo, vcc_lo
	s_cbranch_execz .LBB6_630
; %bb.627:                              ;   in Loop: Header=BB6_496 Depth=2
	v_ashrrev_i32_e32 v1, 31, v16
	v_lshlrev_b32_e32 v4, 5, v17
	v_lshrrev_b32_e32 v1, 27, v1
	v_add_nc_u32_e32 v1, v16, v1
	v_and_b32_e32 v1, 0xffffffe0, v1
	v_sub_nc_u32_e32 v1, v16, v1
	v_sub_nc_u32_e32 v1, v1, v4
	v_add_nc_u32_e32 v8, v8, v1
	v_sub_nc_u32_e32 v15, v15, v8
	v_cmp_lt_i32_e32 vcc_lo, 0, v15
	s_and_b32 exec_lo, exec_lo, vcc_lo
	s_cbranch_execz .LBB6_630
; %bb.628:                              ;   in Loop: Header=BB6_496 Depth=2
	s_trap 2
	ds_read_b128 v[9:12], v0
	ds_read_b64 v[16:17], v0
	v_add_nc_u32_e32 v1, v8, v5
	s_mov_b32 s18, 0
	v_ashrrev_i32_e32 v4, 31, v1
	s_waitcnt lgkmcnt(1)
	v_add_co_u32 v8, vcc_lo, v9, v1
	v_add_co_ci_u32_e64 v9, null, v10, v4, vcc_lo
	v_add_co_u32 v10, vcc_lo, v11, v1
	v_add_co_ci_u32_e64 v11, null, v12, v4, vcc_lo
	s_waitcnt lgkmcnt(0)
	v_add_co_u32 v12, vcc_lo, v16, v1
	v_add_co_ci_u32_e64 v13, null, v17, v4, vcc_lo
	.p2align	6
.LBB6_629:                              ;   Parent Loop BB6_47 Depth=1
                                        ;     Parent Loop BB6_496 Depth=2
                                        ; =>    This Inner Loop Header: Depth=3
	flat_load_ubyte v1, v[8:9] slc
	flat_load_ubyte v4, v[10:11] slc
	v_sub_nc_u32_e32 v15, v15, v40
	v_add_co_u32 v8, vcc_lo, v8, v40
	v_add_co_ci_u32_e64 v9, null, 0, v9, vcc_lo
	v_add_co_u32 v10, vcc_lo, v10, v40
	v_add_co_ci_u32_e64 v11, null, 0, v11, vcc_lo
	v_cmp_gt_i32_e32 vcc_lo, 1, v15
	s_or_b32 s18, vcc_lo, s18
	s_waitcnt vmcnt(0) lgkmcnt(0)
	v_mul_lo_u16 v1, v4, v1
	flat_store_byte v[12:13], v1 glc slc
	v_add_co_u32 v12, s16, v12, v40
	v_add_co_ci_u32_e64 v13, null, 0, v13, s16
	s_andn2_b32 exec_lo, exec_lo, s18
	s_cbranch_execnz .LBB6_629
.LBB6_630:                              ;   in Loop: Header=BB6_496 Depth=2
	s_or_b32 exec_lo, exec_lo, s17
.LBB6_631:                              ;   in Loop: Header=BB6_496 Depth=2
	v_cmp_lt_i32_e64 s16, 0, v91
	s_and_saveexec_b32 s17, s6
	s_cbranch_execz .LBB6_572
.LBB6_632:                              ;   in Loop: Header=BB6_496 Depth=2
	s_and_saveexec_b32 s18, s29
	s_xor_b32 s18, exec_lo, s18
	s_cbranch_execz .LBB6_647
; %bb.633:                              ;   in Loop: Header=BB6_496 Depth=2
	s_and_saveexec_b32 s19, s11
	s_cbranch_execz .LBB6_646
; %bb.634:                              ;   in Loop: Header=BB6_496 Depth=2
	s_mov_b32 s23, exec_lo
	s_mov_b32 s22, exec_lo
	v_mbcnt_lo_u32_b32 v1, s23, 0
	s_waitcnt vmcnt(0) lgkmcnt(0)
	s_waitcnt_vscnt null, 0x0
	buffer_gl1_inv
	buffer_gl0_inv
	v_cmpx_eq_u32_e32 0, v1
	s_cbranch_execz .LBB6_636
; %bb.635:                              ;   in Loop: Header=BB6_496 Depth=2
	s_bcnt1_i32_b32 s23, s23
	v_mov_b32_e32 v9, v2
	v_mov_b32_e32 v8, s23
	ds_add_u64 v0, v[8:9]
	s_trap 2
.LBB6_636:                              ;   in Loop: Header=BB6_496 Depth=2
	s_or_b32 exec_lo, exec_lo, s22
	s_trap 2
	ds_read_b64 v[8:9], v0
	s_waitcnt lgkmcnt(0)
	buffer_gl0_inv
	v_add_co_u32 v54, vcc_lo, v54, v119
	v_add_co_ci_u32_e64 v55, null, 0, v55, vcc_lo
	s_mov_b32 s22, exec_lo
	v_cmpx_lt_u64_e64 v[8:9], v[54:55]
	s_cbranch_execz .LBB6_645
; %bb.637:                              ;   in Loop: Header=BB6_496 Depth=2
	s_mov_b32 s23, 0
	s_mov_b32 s74, 0
                                        ; implicit-def: $sgpr72
                                        ; implicit-def: $sgpr73
	s_inst_prefetch 0x1
	s_branch .LBB6_639
	.p2align	6
.LBB6_638:                              ;   in Loop: Header=BB6_639 Depth=3
	s_or_b32 exec_lo, exec_lo, s76
	s_and_b32 s75, exec_lo, s77
	s_or_b32 s23, s75, s23
	s_andn2_b32 s72, s72, exec_lo
	s_and_b32 s75, s73, exec_lo
	s_or_b32 s72, s72, s75
	s_andn2_b32 exec_lo, exec_lo, s23
	s_cbranch_execz .LBB6_643
.LBB6_639:                              ;   Parent Loop BB6_47 Depth=1
                                        ;     Parent Loop BB6_496 Depth=2
                                        ; =>    This Inner Loop Header: Depth=3
	s_add_i32 s74, s74, 1
	s_cmpk_lg_i32 s74, 0x2710
	s_cselect_b32 s75, -1, 0
	s_and_b32 vcc_lo, exec_lo, s75
	s_cbranch_vccz .LBB6_641
; %bb.640:                              ;   in Loop: Header=BB6_639 Depth=3
	s_mov_b32 s77, -1
	s_or_b32 s73, s73, exec_lo
	s_and_saveexec_b32 s76, s75
	s_cbranch_execz .LBB6_638
	s_branch .LBB6_642
	.p2align	6
.LBB6_641:                              ;   in Loop: Header=BB6_639 Depth=3
	s_trap 2
	ds_read_b64 v[8:9], v0
	s_andn2_b32 s75, s75, exec_lo
	s_mov_b32 s74, 0
	s_waitcnt lgkmcnt(0)
	flat_load_dword v1, v[8:9] glc dlc
	s_waitcnt vmcnt(0) lgkmcnt(0)
	buffer_gl1_inv
	buffer_gl0_inv
	v_cmp_eq_u32_e32 vcc_lo, 0, v1
	s_and_b32 s76, vcc_lo, exec_lo
	s_or_b32 s75, s75, s76
	s_mov_b32 s77, -1
	s_or_b32 s73, s73, exec_lo
	s_and_saveexec_b32 s76, s75
	s_cbranch_execz .LBB6_638
.LBB6_642:                              ;   in Loop: Header=BB6_639 Depth=3
	s_sleep 1
	s_trap 2
	ds_read_b64 v[8:9], v0
	s_waitcnt lgkmcnt(0)
	buffer_gl0_inv
	s_andn2_b32 s73, s73, exec_lo
	v_cmp_ge_u64_e32 vcc_lo, v[8:9], v[54:55]
	s_orn2_b32 s77, vcc_lo, exec_lo
	s_branch .LBB6_638
.LBB6_643:                              ;   in Loop: Header=BB6_496 Depth=2
	s_inst_prefetch 0x2
	s_or_b32 exec_lo, exec_lo, s23
	s_and_saveexec_b32 s23, s72
	s_xor_b32 s23, exec_lo, s23
	s_cbranch_execz .LBB6_645
; %bb.644:                              ;   in Loop: Header=BB6_496 Depth=2
	ds_write_b32 v0, v41
	s_trap 2
.LBB6_645:                              ;   in Loop: Header=BB6_496 Depth=2
	s_or_b32 exec_lo, exec_lo, s22
	;;#ASMSTART
	s_wakeup
	;;#ASMEND
.LBB6_646:                              ;   in Loop: Header=BB6_496 Depth=2
	s_or_b32 exec_lo, exec_lo, s19
.LBB6_647:                              ;   in Loop: Header=BB6_496 Depth=2
	s_andn2_saveexec_b32 s18, s18
	s_cbranch_execz .LBB6_649
; %bb.648:                              ;   in Loop: Header=BB6_496 Depth=2
	s_waitcnt vmcnt(0) lgkmcnt(0)
	s_waitcnt_vscnt null, 0x0
	buffer_gl1_inv
	buffer_gl0_inv
	s_barrier
.LBB6_649:                              ;   in Loop: Header=BB6_496 Depth=2
	s_or_b32 exec_lo, exec_lo, s18
	s_or_b32 exec_lo, exec_lo, s17
                                        ; implicit-def: $vgpr8
	s_and_saveexec_b32 s17, s13
	s_xor_b32 s17, exec_lo, s17
	s_cbranch_execnz .LBB6_573
.LBB6_650:                              ;   in Loop: Header=BB6_496 Depth=2
	s_andn2_saveexec_b32 s16, s17
	s_cbranch_execz .LBB6_669
.LBB6_651:                              ;   in Loop: Header=BB6_496 Depth=2
	s_and_saveexec_b32 s17, s29
	s_xor_b32 s17, exec_lo, s17
	s_cbranch_execz .LBB6_666
; %bb.652:                              ;   in Loop: Header=BB6_496 Depth=2
	s_and_saveexec_b32 s18, s11
	s_cbranch_execz .LBB6_665
; %bb.653:                              ;   in Loop: Header=BB6_496 Depth=2
	s_mov_b32 s22, exec_lo
	s_mov_b32 s19, exec_lo
	v_mbcnt_lo_u32_b32 v1, s22, 0
	;;#ASMSTART
	s_waitcnt lgkmcnt(0) vmcnt(0)
	;;#ASMEND
	v_cmpx_eq_u32_e32 0, v1
	s_cbranch_execz .LBB6_655
; %bb.654:                              ;   in Loop: Header=BB6_496 Depth=2
	s_bcnt1_i32_b32 s22, s22
	v_mov_b32_e32 v9, v2
	v_mov_b32_e32 v8, s22
	s_waitcnt vmcnt(0) lgkmcnt(0)
	s_waitcnt_vscnt null, 0x0
	ds_add_u64 v0, v[8:9]
	s_trap 2
.LBB6_655:                              ;   in Loop: Header=BB6_496 Depth=2
	s_or_b32 exec_lo, exec_lo, s19
	s_trap 2
	ds_read_b64 v[8:9], v0
	s_waitcnt vmcnt(0) lgkmcnt(0)
	buffer_gl0_inv
	v_add_co_u32 v54, vcc_lo, v54, v119
	v_add_co_ci_u32_e64 v55, null, 0, v55, vcc_lo
	s_mov_b32 s19, exec_lo
	v_cmpx_lt_u64_e64 v[8:9], v[54:55]
	s_cbranch_execz .LBB6_664
; %bb.656:                              ;   in Loop: Header=BB6_496 Depth=2
	s_mov_b32 s22, 0
	s_mov_b32 s73, 0
                                        ; implicit-def: $sgpr23
                                        ; implicit-def: $sgpr72
	s_inst_prefetch 0x1
	s_branch .LBB6_658
	.p2align	6
.LBB6_657:                              ;   in Loop: Header=BB6_658 Depth=3
	s_or_b32 exec_lo, exec_lo, s75
	s_and_b32 s74, exec_lo, s76
	s_or_b32 s22, s74, s22
	s_andn2_b32 s23, s23, exec_lo
	s_and_b32 s74, s72, exec_lo
	s_or_b32 s23, s23, s74
	s_andn2_b32 exec_lo, exec_lo, s22
	s_cbranch_execz .LBB6_662
.LBB6_658:                              ;   Parent Loop BB6_47 Depth=1
                                        ;     Parent Loop BB6_496 Depth=2
                                        ; =>    This Inner Loop Header: Depth=3
	s_add_i32 s73, s73, 1
	s_cmpk_lg_i32 s73, 0x2710
	s_cselect_b32 s74, -1, 0
	s_and_b32 vcc_lo, exec_lo, s74
	s_cbranch_vccz .LBB6_660
; %bb.659:                              ;   in Loop: Header=BB6_658 Depth=3
	s_mov_b32 s76, -1
	s_or_b32 s72, s72, exec_lo
	s_and_saveexec_b32 s75, s74
	s_cbranch_execz .LBB6_657
	s_branch .LBB6_661
	.p2align	6
.LBB6_660:                              ;   in Loop: Header=BB6_658 Depth=3
	s_trap 2
	ds_read_b64 v[8:9], v0
	s_andn2_b32 s74, s74, exec_lo
	s_mov_b32 s73, 0
	s_waitcnt lgkmcnt(0)
	s_waitcnt_vscnt null, 0x0
	flat_load_dword v1, v[8:9] glc dlc
	s_waitcnt vmcnt(0) lgkmcnt(0)
	buffer_gl1_inv
	buffer_gl0_inv
	v_cmp_eq_u32_e32 vcc_lo, 0, v1
	s_and_b32 s75, vcc_lo, exec_lo
	s_or_b32 s74, s74, s75
	s_mov_b32 s76, -1
	s_or_b32 s72, s72, exec_lo
	s_and_saveexec_b32 s75, s74
	s_cbranch_execz .LBB6_657
.LBB6_661:                              ;   in Loop: Header=BB6_658 Depth=3
	s_sleep 1
	s_trap 2
	ds_read_b64 v[8:9], v0
	s_waitcnt lgkmcnt(0)
	buffer_gl0_inv
	s_andn2_b32 s72, s72, exec_lo
	v_cmp_ge_u64_e32 vcc_lo, v[8:9], v[54:55]
	s_orn2_b32 s76, vcc_lo, exec_lo
	s_branch .LBB6_657
.LBB6_662:                              ;   in Loop: Header=BB6_496 Depth=2
	s_inst_prefetch 0x2
	s_or_b32 exec_lo, exec_lo, s22
	s_and_saveexec_b32 s22, s23
	s_xor_b32 s22, exec_lo, s22
	s_cbranch_execz .LBB6_664
; %bb.663:                              ;   in Loop: Header=BB6_496 Depth=2
	ds_write_b32 v0, v41
	s_trap 2
.LBB6_664:                              ;   in Loop: Header=BB6_496 Depth=2
	s_or_b32 exec_lo, exec_lo, s19
	;;#ASMSTART
	s_wakeup
	;;#ASMEND
.LBB6_665:                              ;   in Loop: Header=BB6_496 Depth=2
	s_or_b32 exec_lo, exec_lo, s18
.LBB6_666:                              ;   in Loop: Header=BB6_496 Depth=2
	s_andn2_saveexec_b32 s17, s17
	s_cbranch_execz .LBB6_668
; %bb.667:                              ;   in Loop: Header=BB6_496 Depth=2
	;;#ASMSTART
	s_waitcnt lgkmcnt(0) vmcnt(0)
	;;#ASMEND
	s_barrier
.LBB6_668:                              ;   in Loop: Header=BB6_496 Depth=2
	s_or_b32 exec_lo, exec_lo, s17
	v_and_b32_e32 v8, 16, v116
.LBB6_669:                              ;   in Loop: Header=BB6_496 Depth=2
	s_or_b32 exec_lo, exec_lo, s16
	v_cmp_ne_u32_e32 vcc_lo, 0, v8
	s_xor_b32 s16, s7, -1
	s_and_b32 s17, vcc_lo, s16
	s_and_saveexec_b32 s16, s17
	s_cbranch_execz .LBB6_671
; %bb.670:                              ;   in Loop: Header=BB6_496 Depth=2
	s_waitcnt vmcnt(0) lgkmcnt(0)
	s_waitcnt_vscnt null, 0x0
	flat_store_dword v[52:53], v41
.LBB6_671:                              ;   in Loop: Header=BB6_496 Depth=2
	s_or_b32 exec_lo, exec_lo, s16
	v_and_b32_e32 v1, 48, v116
	s_mov_b32 s16, exec_lo
	v_cmpx_ne_u32_e32 0, v1
	s_cbranch_execz .LBB6_495
; %bb.672:                              ;   in Loop: Header=BB6_496 Depth=2
	v_add_co_u32 v80, vcc_lo, v80, 2
	v_add_co_ci_u32_e64 v81, null, 0, v81, vcc_lo
	s_waitcnt vmcnt(0) lgkmcnt(0)
	s_waitcnt_vscnt null, 0x0
	flat_store_dwordx2 v[48:49], v[80:81]
	s_branch .LBB6_495
.LBB6_673:                              ;   in Loop: Header=BB6_47 Depth=1
	s_or_b32 exec_lo, exec_lo, s61
.LBB6_674:                              ;   in Loop: Header=BB6_47 Depth=1
	s_or_b32 exec_lo, exec_lo, s21
	s_mov_b32 s17, exec_lo
	v_cmpx_gt_i32_e32 2, v10
	s_cbranch_execz .LBB6_750
; %bb.675:                              ;   in Loop: Header=BB6_47 Depth=1
	v_cmp_eq_u32_e64 s19, 0, v10
	s_mov_b32 s18, 0
	s_branch .LBB6_677
.LBB6_676:                              ;   in Loop: Header=BB6_677 Depth=2
	s_or_b32 exec_lo, exec_lo, s16
	v_add_nc_u32_e32 v87, v84, v87
	s_mov_b32 s19, 0
	s_andn2_b32 exec_lo, exec_lo, s18
	s_cbranch_execz .LBB6_749
.LBB6_677:                              ;   Parent Loop BB6_47 Depth=1
                                        ; =>  This Loop Header: Depth=2
                                        ;       Child Loop BB6_683 Depth 3
                                        ;       Child Loop BB6_711 Depth 3
	;; [unrolled: 1-line block ×3, first 2 shown]
	v_sub_nc_u32_e32 v1, v3, v87
	v_and_b32_e32 v4, 12, v116
	s_mov_b32 s21, exec_lo
	v_min_i32_e32 v84, v84, v1
	v_cmpx_ne_u32_e32 0, v4
	s_cbranch_execz .LBB6_703
; %bb.678:                              ;   in Loop: Header=BB6_677 Depth=2
	v_and_b32_e32 v16, 8, v116
	s_mov_b32 s22, exec_lo
	s_waitcnt vmcnt(0) lgkmcnt(1)
	v_add_co_u32 v10, vcc_lo, v64, v16
	v_add_co_ci_u32_e64 v11, null, 0, v65, vcc_lo
	v_add_co_u32 v8, vcc_lo, v80, 2
	v_add_co_ci_u32_e64 v9, null, 0, v81, vcc_lo
	v_cmpx_lt_u64_e64 v[10:11], v[8:9]
	s_cbranch_execz .LBB6_690
; %bb.679:                              ;   in Loop: Header=BB6_677 Depth=2
	v_and_b32_e32 v1, 64, v116
	s_mov_b32 s23, 0
	s_mov_b32 s72, 0
                                        ; implicit-def: $sgpr61
                                        ; implicit-def: $sgpr62
                                        ; implicit-def: $sgpr63
	v_cmp_eq_u32_e32 vcc_lo, 0, v1
	s_branch .LBB6_683
.LBB6_680:                              ;   in Loop: Header=BB6_683 Depth=3
	s_waitcnt vmcnt(0) lgkmcnt(0)
	v_add_co_u32 v11, s16, v64, v16
	v_add_co_ci_u32_e64 v12, null, 0, v65, s16
	s_or_b32 s75, s75, exec_lo
	v_cmp_ge_u64_e64 s16, v[11:12], v[8:9]
	s_orn2_b32 s74, s16, exec_lo
.LBB6_681:                              ;   in Loop: Header=BB6_683 Depth=3
	s_or_b32 exec_lo, exec_lo, s77
	s_andn2_b32 s16, s63, exec_lo
	s_and_b32 s63, s75, exec_lo
	s_andn2_b32 s62, s62, exec_lo
	s_and_b32 s74, s74, exec_lo
	s_or_b32 s63, s16, s63
	s_or_b32 s62, s62, s74
.LBB6_682:                              ;   in Loop: Header=BB6_683 Depth=3
	s_or_b32 exec_lo, exec_lo, s73
	s_and_b32 s16, exec_lo, s62
	s_or_b32 s23, s16, s23
	s_andn2_b32 s16, s61, exec_lo
	s_and_b32 s61, s63, exec_lo
	s_or_b32 s61, s16, s61
	s_andn2_b32 exec_lo, exec_lo, s23
	s_cbranch_execz .LBB6_687
.LBB6_683:                              ;   Parent Loop BB6_47 Depth=1
                                        ;     Parent Loop BB6_677 Depth=2
                                        ; =>    This Inner Loop Header: Depth=3
	s_sleep 1
	s_waitcnt vmcnt(0) lgkmcnt(0)
	flat_load_dwordx2 v[64:65], v[48:49] glc dlc
	s_or_b32 s63, s63, exec_lo
	s_or_b32 s62, s62, exec_lo
                                        ; implicit-def: $vgpr10
	s_and_saveexec_b32 s73, vcc_lo
	s_cbranch_execz .LBB6_682
; %bb.684:                              ;   in Loop: Header=BB6_683 Depth=3
	s_cmpk_lt_i32 s72, 0x270f
	s_mov_b32 s74, -1
	s_cselect_b32 s76, -1, 0
	s_cmpk_gt_i32 s72, 0x270e
	s_cbranch_scc0 .LBB6_686
; %bb.685:                              ;   in Loop: Header=BB6_683 Depth=3
	s_trap 2
	ds_read_b64 v[10:11], v0
	s_andn2_b32 s72, s76, exec_lo
	s_mov_b32 s75, 0
	s_waitcnt vmcnt(0) lgkmcnt(0)
	s_waitcnt_vscnt null, 0x0
	flat_load_dword v10, v[10:11] glc dlc
	s_waitcnt vmcnt(0) lgkmcnt(0)
	buffer_gl1_inv
	buffer_gl0_inv
	v_cmp_eq_u32_e64 s16, 0, v10
	s_and_b32 s16, s16, exec_lo
	s_or_b32 s76, s72, s16
	s_mov_b32 s72, 0
	s_and_saveexec_b32 s77, s76
	s_cbranch_execz .LBB6_681
	s_branch .LBB6_680
.LBB6_686:                              ;   in Loop: Header=BB6_683 Depth=3
	s_add_i32 s72, s72, 1
	s_mov_b32 s75, -1
                                        ; implicit-def: $vgpr10
	s_and_saveexec_b32 s77, s76
	s_cbranch_execz .LBB6_681
	s_branch .LBB6_680
.LBB6_687:                              ;   in Loop: Header=BB6_677 Depth=2
	s_or_b32 exec_lo, exec_lo, s23
	s_xor_b32 s16, s61, -1
	s_and_saveexec_b32 s23, s16
	s_xor_b32 s16, exec_lo, s23
	s_cbranch_execz .LBB6_689
; %bb.688:                              ;   in Loop: Header=BB6_677 Depth=2
	v_or_b32_e32 v116, 64, v116
	s_waitcnt vmcnt(0) lgkmcnt(0)
	s_waitcnt_vscnt null, 0x0
	ds_write_b32 v0, v10
	s_trap 2
.LBB6_689:                              ;   in Loop: Header=BB6_677 Depth=2
	s_or_b32 exec_lo, exec_lo, s16
.LBB6_690:                              ;   in Loop: Header=BB6_677 Depth=2
	s_or_b32 exec_lo, exec_lo, s22
	v_and_b32_e32 v1, 0x108, v116
	s_mov_b32 s16, exec_lo
	;;#ASMSTART
	s_wakeup
	;;#ASMEND
                                        ; implicit-def: $vgpr10_vgpr11
	v_cmpx_ne_u32_e32 0x108, v1
	s_xor_b32 s16, exec_lo, s16
; %bb.691:                              ;   in Loop: Header=BB6_677 Depth=2
	v_and_b32_e32 v10, 7, v80
	v_mov_b32_e32 v11, v2
                                        ; implicit-def: $vgpr80_vgpr81
; %bb.692:                              ;   in Loop: Header=BB6_677 Depth=2
	s_andn2_saveexec_b32 s16, s16
	s_cbranch_execz .LBB6_694
; %bb.693:                              ;   in Loop: Header=BB6_677 Depth=2
	v_and_b32_e32 v10, 7, v80
	v_ashrrev_i32_e32 v85, 31, v84
	v_mov_b32_e32 v11, v2
	v_mad_u64_u32 v[12:13], null, v10, 24, v[6:7]
	flat_store_dwordx2 v[12:13], v[84:85] offset:8
.LBB6_694:                              ;   in Loop: Header=BB6_677 Depth=2
	s_or_b32 exec_lo, exec_lo, s16
	v_and_b32_e32 v1, 0x100, v116
	s_mov_b32 s16, -1
	s_mov_b32 s22, exec_lo
                                        ; implicit-def: $vgpr12_vgpr13
	v_cmpx_ne_u32_e32 0, v1
	s_cbranch_execz .LBB6_698
; %bb.695:                              ;   in Loop: Header=BB6_677 Depth=2
	v_mad_u64_u32 v[14:15], null, v10, 24, v[6:7]
	s_mov_b32 s23, exec_lo
	v_mov_b32_e32 v12, v15
	v_mad_u64_u32 v[12:13], null, v11, 24, v[12:13]
	v_mov_b32_e32 v15, v12
                                        ; implicit-def: $vgpr12_vgpr13
	flat_load_dword v1, v[14:15]
	s_waitcnt vmcnt(0) lgkmcnt(0)
	v_cmp_ne_u32_e32 vcc_lo, 1, v1
	v_cmpx_eq_u32_e32 1, v1
	s_cbranch_execz .LBB6_697
; %bb.696:                              ;   in Loop: Header=BB6_677 Depth=2
	flat_load_dword v12, v[14:15] offset:4 glc dlc
	s_waitcnt vmcnt(0) lgkmcnt(0)
	v_ashrrev_i32_e32 v13, 31, v12
.LBB6_697:                              ;   in Loop: Header=BB6_677 Depth=2
	s_or_b32 exec_lo, exec_lo, s23
	s_orn2_b32 s16, vcc_lo, exec_lo
.LBB6_698:                              ;   in Loop: Header=BB6_677 Depth=2
	s_or_b32 exec_lo, exec_lo, s22
	s_and_saveexec_b32 s22, s16
; %bb.699:                              ;   in Loop: Header=BB6_677 Depth=2
	v_mul_lo_u32 v1, v11, v117
	v_mul_lo_u32 v4, v10, v118
	v_mad_u64_u32 v[12:13], null, v10, v117, 0
	v_add3_u32 v13, v13, v4, v1
; %bb.700:                              ;   in Loop: Header=BB6_677 Depth=2
	s_or_b32 exec_lo, exec_lo, s22
	v_cmp_eq_u32_e32 vcc_lo, 0, v16
	v_and_b32_e32 v4, 0x2000, v116
	s_mov_b32 s16, exec_lo
	v_cndmask_b32_e32 v1, 0xd0, v42, vcc_lo
	v_add_co_u32 v10, vcc_lo, v50, v12
	v_add_co_ci_u32_e64 v11, null, v51, v13, vcc_lo
	v_add_nc_u32_e32 v1, v0, v1
	ds_write_b64 v1, v[10:11] offset:584
	v_cmpx_ne_u32_e32 0, v4
	s_cbranch_execz .LBB6_702
; %bb.701:                              ;   in Loop: Header=BB6_677 Depth=2
	ds_read_b64 v[10:11], v0 offset:872
	s_waitcnt lgkmcnt(0)
	v_add_co_u32 v10, vcc_lo, v10, 1
	v_add_co_ci_u32_e64 v11, null, 0, v11, vcc_lo
	ds_write_b64 v0, v[10:11] offset:872
.LBB6_702:                              ;   in Loop: Header=BB6_677 Depth=2
	s_or_b32 exec_lo, exec_lo, s16
	v_mov_b32_e32 v81, v9
	v_mov_b32_e32 v80, v8
.LBB6_703:                              ;   in Loop: Header=BB6_677 Depth=2
	s_or_b32 exec_lo, exec_lo, s21
	s_xor_b32 s16, s19, -1
	s_and_b32 s16, exec_lo, s16
	s_or_b32 s18, s16, s18
	s_and_saveexec_b32 s16, s6
	s_cbranch_execz .LBB6_722
; %bb.704:                              ;   in Loop: Header=BB6_677 Depth=2
	s_and_saveexec_b32 s19, s29
	s_xor_b32 s19, exec_lo, s19
	s_cbranch_execz .LBB6_719
; %bb.705:                              ;   in Loop: Header=BB6_677 Depth=2
	s_and_saveexec_b32 s21, s11
	s_cbranch_execz .LBB6_718
; %bb.706:                              ;   in Loop: Header=BB6_677 Depth=2
	s_mov_b32 s23, exec_lo
	s_mov_b32 s22, exec_lo
	v_mbcnt_lo_u32_b32 v1, s23, 0
	s_waitcnt vmcnt(0) lgkmcnt(0)
	s_waitcnt_vscnt null, 0x0
	buffer_gl1_inv
	buffer_gl0_inv
	v_cmpx_eq_u32_e32 0, v1
	s_cbranch_execz .LBB6_708
; %bb.707:                              ;   in Loop: Header=BB6_677 Depth=2
	s_bcnt1_i32_b32 s23, s23
	v_mov_b32_e32 v9, v2
	v_mov_b32_e32 v8, s23
	ds_add_u64 v0, v[8:9]
	s_trap 2
.LBB6_708:                              ;   in Loop: Header=BB6_677 Depth=2
	s_or_b32 exec_lo, exec_lo, s22
	s_trap 2
	ds_read_b64 v[8:9], v0
	s_waitcnt lgkmcnt(0)
	buffer_gl0_inv
	v_add_co_u32 v54, vcc_lo, v54, v119
	v_add_co_ci_u32_e64 v55, null, 0, v55, vcc_lo
	s_mov_b32 s22, exec_lo
	v_cmpx_lt_u64_e64 v[8:9], v[54:55]
	s_cbranch_execz .LBB6_717
; %bb.709:                              ;   in Loop: Header=BB6_677 Depth=2
	s_mov_b32 s23, 0
	s_mov_b32 s63, 0
                                        ; implicit-def: $sgpr61
                                        ; implicit-def: $sgpr62
	s_inst_prefetch 0x1
	s_branch .LBB6_711
	.p2align	6
.LBB6_710:                              ;   in Loop: Header=BB6_711 Depth=3
	s_or_b32 exec_lo, exec_lo, s73
	s_and_b32 s72, exec_lo, s74
	s_or_b32 s23, s72, s23
	s_andn2_b32 s61, s61, exec_lo
	s_and_b32 s72, s62, exec_lo
	s_or_b32 s61, s61, s72
	s_andn2_b32 exec_lo, exec_lo, s23
	s_cbranch_execz .LBB6_715
.LBB6_711:                              ;   Parent Loop BB6_47 Depth=1
                                        ;     Parent Loop BB6_677 Depth=2
                                        ; =>    This Inner Loop Header: Depth=3
	s_add_i32 s63, s63, 1
	s_cmpk_lg_i32 s63, 0x2710
	s_cselect_b32 s72, -1, 0
	s_and_b32 vcc_lo, exec_lo, s72
	s_cbranch_vccz .LBB6_713
; %bb.712:                              ;   in Loop: Header=BB6_711 Depth=3
	s_mov_b32 s74, -1
	s_or_b32 s62, s62, exec_lo
	s_and_saveexec_b32 s73, s72
	s_cbranch_execz .LBB6_710
	s_branch .LBB6_714
	.p2align	6
.LBB6_713:                              ;   in Loop: Header=BB6_711 Depth=3
	s_trap 2
	ds_read_b64 v[8:9], v0
	s_andn2_b32 s72, s72, exec_lo
	s_mov_b32 s63, 0
	s_waitcnt lgkmcnt(0)
	flat_load_dword v1, v[8:9] glc dlc
	s_waitcnt vmcnt(0) lgkmcnt(0)
	buffer_gl1_inv
	buffer_gl0_inv
	v_cmp_eq_u32_e32 vcc_lo, 0, v1
	s_and_b32 s73, vcc_lo, exec_lo
	s_or_b32 s72, s72, s73
	s_mov_b32 s74, -1
	s_or_b32 s62, s62, exec_lo
	s_and_saveexec_b32 s73, s72
	s_cbranch_execz .LBB6_710
.LBB6_714:                              ;   in Loop: Header=BB6_711 Depth=3
	s_sleep 1
	s_trap 2
	ds_read_b64 v[8:9], v0
	s_waitcnt lgkmcnt(0)
	buffer_gl0_inv
	s_andn2_b32 s62, s62, exec_lo
	v_cmp_ge_u64_e32 vcc_lo, v[8:9], v[54:55]
	s_orn2_b32 s74, vcc_lo, exec_lo
	s_branch .LBB6_710
.LBB6_715:                              ;   in Loop: Header=BB6_677 Depth=2
	s_inst_prefetch 0x2
	s_or_b32 exec_lo, exec_lo, s23
	s_and_saveexec_b32 s23, s61
	s_xor_b32 s23, exec_lo, s23
	s_cbranch_execz .LBB6_717
; %bb.716:                              ;   in Loop: Header=BB6_677 Depth=2
	ds_write_b32 v0, v41
	s_trap 2
.LBB6_717:                              ;   in Loop: Header=BB6_677 Depth=2
	s_or_b32 exec_lo, exec_lo, s22
	;;#ASMSTART
	s_wakeup
	;;#ASMEND
.LBB6_718:                              ;   in Loop: Header=BB6_677 Depth=2
	s_or_b32 exec_lo, exec_lo, s21
.LBB6_719:                              ;   in Loop: Header=BB6_677 Depth=2
	s_andn2_saveexec_b32 s19, s19
	s_cbranch_execz .LBB6_721
; %bb.720:                              ;   in Loop: Header=BB6_677 Depth=2
	s_waitcnt vmcnt(0) lgkmcnt(0)
	s_waitcnt_vscnt null, 0x0
	buffer_gl1_inv
	buffer_gl0_inv
	s_barrier
.LBB6_721:                              ;   in Loop: Header=BB6_677 Depth=2
	s_or_b32 exec_lo, exec_lo, s19
.LBB6_722:                              ;   in Loop: Header=BB6_677 Depth=2
	s_or_b32 exec_lo, exec_lo, s16
                                        ; implicit-def: $vgpr8
	s_and_saveexec_b32 s16, s13
	s_xor_b32 s19, exec_lo, s16
	s_cbranch_execz .LBB6_726
; %bb.723:                              ;   in Loop: Header=BB6_677 Depth=2
	s_trap 2
	ds_read_b32 v1, v0
	v_cmp_lt_i32_e32 vcc_lo, 0, v84
	v_and_b32_e32 v8, 16, v116
	s_waitcnt lgkmcnt(0)
	v_readfirstlane_b32 s16, v1
	v_and_b32_e32 v1, 16, v116
	s_cmp_eq_u32 s16, 0
	v_cmp_ne_u32_e64 s16, 0, v1
	s_cselect_b32 s21, -1, 0
	s_and_b32 s21, vcc_lo, s21
	s_and_b32 s21, s16, s21
	s_and_saveexec_b32 s16, s21
	s_cbranch_execz .LBB6_725
; %bb.724:                              ;   in Loop: Header=BB6_677 Depth=2
	v_mov_b32_e32 v8, 1
	s_waitcnt vmcnt(0)
	s_waitcnt_vscnt null, 0x0
	buffer_gl1_inv
	buffer_gl0_inv
.LBB6_725:                              ;   in Loop: Header=BB6_677 Depth=2
	s_or_b32 exec_lo, exec_lo, s16
	s_andn2_saveexec_b32 s16, s19
	s_cbranch_execz .LBB6_745
	s_branch .LBB6_727
.LBB6_726:                              ;   in Loop: Header=BB6_677 Depth=2
	s_andn2_saveexec_b32 s16, s19
	s_cbranch_execz .LBB6_745
.LBB6_727:                              ;   in Loop: Header=BB6_677 Depth=2
	s_and_saveexec_b32 s19, s29
	s_xor_b32 s19, exec_lo, s19
	s_cbranch_execz .LBB6_742
; %bb.728:                              ;   in Loop: Header=BB6_677 Depth=2
	s_and_saveexec_b32 s21, s11
	s_cbranch_execz .LBB6_741
; %bb.729:                              ;   in Loop: Header=BB6_677 Depth=2
	s_mov_b32 s23, exec_lo
	s_mov_b32 s22, exec_lo
	v_mbcnt_lo_u32_b32 v1, s23, 0
	;;#ASMSTART
	s_waitcnt lgkmcnt(0) vmcnt(0)
	;;#ASMEND
	v_cmpx_eq_u32_e32 0, v1
	s_cbranch_execz .LBB6_731
; %bb.730:                              ;   in Loop: Header=BB6_677 Depth=2
	s_bcnt1_i32_b32 s23, s23
	v_mov_b32_e32 v9, v2
	v_mov_b32_e32 v8, s23
	s_waitcnt vmcnt(0) lgkmcnt(0)
	s_waitcnt_vscnt null, 0x0
	ds_add_u64 v0, v[8:9]
	s_trap 2
.LBB6_731:                              ;   in Loop: Header=BB6_677 Depth=2
	s_or_b32 exec_lo, exec_lo, s22
	s_trap 2
	ds_read_b64 v[8:9], v0
	s_waitcnt vmcnt(0) lgkmcnt(0)
	buffer_gl0_inv
	v_add_co_u32 v54, vcc_lo, v54, v119
	v_add_co_ci_u32_e64 v55, null, 0, v55, vcc_lo
	s_mov_b32 s22, exec_lo
	v_cmpx_lt_u64_e64 v[8:9], v[54:55]
	s_cbranch_execz .LBB6_740
; %bb.732:                              ;   in Loop: Header=BB6_677 Depth=2
	s_mov_b32 s23, 0
	s_mov_b32 s63, 0
                                        ; implicit-def: $sgpr61
                                        ; implicit-def: $sgpr62
	s_inst_prefetch 0x1
	s_branch .LBB6_734
	.p2align	6
.LBB6_733:                              ;   in Loop: Header=BB6_734 Depth=3
	s_or_b32 exec_lo, exec_lo, s73
	s_and_b32 s72, exec_lo, s74
	s_or_b32 s23, s72, s23
	s_andn2_b32 s61, s61, exec_lo
	s_and_b32 s72, s62, exec_lo
	s_or_b32 s61, s61, s72
	s_andn2_b32 exec_lo, exec_lo, s23
	s_cbranch_execz .LBB6_738
.LBB6_734:                              ;   Parent Loop BB6_47 Depth=1
                                        ;     Parent Loop BB6_677 Depth=2
                                        ; =>    This Inner Loop Header: Depth=3
	s_add_i32 s63, s63, 1
	s_cmpk_lg_i32 s63, 0x2710
	s_cselect_b32 s72, -1, 0
	s_and_b32 vcc_lo, exec_lo, s72
	s_cbranch_vccz .LBB6_736
; %bb.735:                              ;   in Loop: Header=BB6_734 Depth=3
	s_mov_b32 s74, -1
	s_or_b32 s62, s62, exec_lo
	s_and_saveexec_b32 s73, s72
	s_cbranch_execz .LBB6_733
	s_branch .LBB6_737
	.p2align	6
.LBB6_736:                              ;   in Loop: Header=BB6_734 Depth=3
	s_trap 2
	ds_read_b64 v[8:9], v0
	s_andn2_b32 s72, s72, exec_lo
	s_mov_b32 s63, 0
	s_waitcnt lgkmcnt(0)
	s_waitcnt_vscnt null, 0x0
	flat_load_dword v1, v[8:9] glc dlc
	s_waitcnt vmcnt(0) lgkmcnt(0)
	buffer_gl1_inv
	buffer_gl0_inv
	v_cmp_eq_u32_e32 vcc_lo, 0, v1
	s_and_b32 s73, vcc_lo, exec_lo
	s_or_b32 s72, s72, s73
	s_mov_b32 s74, -1
	s_or_b32 s62, s62, exec_lo
	s_and_saveexec_b32 s73, s72
	s_cbranch_execz .LBB6_733
.LBB6_737:                              ;   in Loop: Header=BB6_734 Depth=3
	s_sleep 1
	s_trap 2
	ds_read_b64 v[8:9], v0
	s_waitcnt lgkmcnt(0)
	buffer_gl0_inv
	s_andn2_b32 s62, s62, exec_lo
	v_cmp_ge_u64_e32 vcc_lo, v[8:9], v[54:55]
	s_orn2_b32 s74, vcc_lo, exec_lo
	s_branch .LBB6_733
.LBB6_738:                              ;   in Loop: Header=BB6_677 Depth=2
	s_inst_prefetch 0x2
	s_or_b32 exec_lo, exec_lo, s23
	s_and_saveexec_b32 s23, s61
	s_xor_b32 s23, exec_lo, s23
	s_cbranch_execz .LBB6_740
; %bb.739:                              ;   in Loop: Header=BB6_677 Depth=2
	ds_write_b32 v0, v41
	s_trap 2
.LBB6_740:                              ;   in Loop: Header=BB6_677 Depth=2
	s_or_b32 exec_lo, exec_lo, s22
	;;#ASMSTART
	s_wakeup
	;;#ASMEND
.LBB6_741:                              ;   in Loop: Header=BB6_677 Depth=2
	s_or_b32 exec_lo, exec_lo, s21
.LBB6_742:                              ;   in Loop: Header=BB6_677 Depth=2
	s_andn2_saveexec_b32 s19, s19
	s_cbranch_execz .LBB6_744
; %bb.743:                              ;   in Loop: Header=BB6_677 Depth=2
	;;#ASMSTART
	s_waitcnt lgkmcnt(0) vmcnt(0)
	;;#ASMEND
	s_barrier
.LBB6_744:                              ;   in Loop: Header=BB6_677 Depth=2
	s_or_b32 exec_lo, exec_lo, s19
	v_and_b32_e32 v8, 16, v116
.LBB6_745:                              ;   in Loop: Header=BB6_677 Depth=2
	s_or_b32 exec_lo, exec_lo, s16
	v_cmp_ne_u32_e32 vcc_lo, 0, v8
	s_xor_b32 s16, s7, -1
	s_and_b32 s19, vcc_lo, s16
	s_and_saveexec_b32 s16, s19
	s_cbranch_execz .LBB6_747
; %bb.746:                              ;   in Loop: Header=BB6_677 Depth=2
	s_waitcnt vmcnt(0) lgkmcnt(0)
	s_waitcnt_vscnt null, 0x0
	flat_store_dword v[52:53], v41
.LBB6_747:                              ;   in Loop: Header=BB6_677 Depth=2
	s_or_b32 exec_lo, exec_lo, s16
	v_and_b32_e32 v1, 48, v116
	s_mov_b32 s16, exec_lo
	v_cmpx_ne_u32_e32 0, v1
	s_cbranch_execz .LBB6_676
; %bb.748:                              ;   in Loop: Header=BB6_677 Depth=2
	v_add_co_u32 v80, vcc_lo, v80, 2
	v_add_co_ci_u32_e64 v81, null, 0, v81, vcc_lo
	s_waitcnt vmcnt(0) lgkmcnt(0)
	s_waitcnt_vscnt null, 0x0
	flat_store_dwordx2 v[48:49], v[80:81]
	s_branch .LBB6_676
.LBB6_749:                              ;   in Loop: Header=BB6_47 Depth=1
	s_or_b32 exec_lo, exec_lo, s18
.LBB6_750:                              ;   in Loop: Header=BB6_47 Depth=1
	s_or_b32 exec_lo, exec_lo, s17
	s_andn2_b32 vcc_lo, exec_lo, s46
	s_cbranch_vccnz .LBB6_1011
; %bb.751:                              ;   in Loop: Header=BB6_47 Depth=1
	s_mov_b32 s21, 1
.LBB6_752:                              ;   Parent Loop BB6_47 Depth=1
                                        ; =>  This Loop Header: Depth=2
                                        ;       Child Loop BB6_755 Depth 3
                                        ;         Child Loop BB6_763 Depth 4
                                        ;         Child Loop BB6_791 Depth 4
	;; [unrolled: 1-line block ×5, first 2 shown]
                                        ;           Child Loop BB6_843 Depth 5
                                        ;         Child Loop BB6_852 Depth 4
                                        ;         Child Loop BB6_857 Depth 4
                                        ;           Child Loop BB6_858 Depth 5
                                        ;         Child Loop BB6_870 Depth 4
                                        ;         Child Loop BB6_875 Depth 4
                                        ;         Child Loop BB6_883 Depth 4
                                        ;         Child Loop BB6_888 Depth 4
                                        ;         Child Loop BB6_898 Depth 4
                                        ;         Child Loop BB6_917 Depth 4
                                        ;       Child Loop BB6_936 Depth 3
                                        ;         Child Loop BB6_942 Depth 4
                                        ;         Child Loop BB6_970 Depth 4
	;; [unrolled: 1-line block ×3, first 2 shown]
	s_clause 0x3
	buffer_load_dword v4, off, s[0:3], s33 offset:200
	buffer_load_dword v5, off, s[0:3], s33 offset:204
	;; [unrolled: 1-line block ×4, first 2 shown]
	s_sub_i32 s16, s42, s21
	v_mov_b32_e32 v21, 0
	s_cmp_ge_i32 s16, s25
	s_mov_b32 s62, 0
	s_cselect_b32 s17, s25, 0
	s_sub_i32 s16, s16, s17
	s_ashr_i32 s17, s16, 31
	s_waitcnt vmcnt(3)
	v_mad_u64_u32 v[8:9], null, v4, s16, 0
	s_waitcnt vmcnt(2)
	v_mul_lo_u32 v1, v5, s16
	v_mul_lo_u32 v3, v4, s17
	s_waitcnt vmcnt(1)
	v_sub_co_u32 v10, vcc_lo, v10, v8
	v_add3_u32 v9, v9, v3, v1
	s_waitcnt vmcnt(0)
	v_sub_co_ci_u32_e64 v11, null, v11, v9, vcc_lo
	v_cmp_lt_i64_e32 vcc_lo, v[4:5], v[10:11]
	v_cndmask_b32_e32 v1, v10, v4, vcc_lo
	v_mov_b32_e32 v10, 0
	v_max_i32_e32 v3, 0, v1
	v_cmp_lt_i32_e32 vcc_lo, 0, v1
	v_add_nc_u32_e32 v4, 31, v3
	s_and_b32 s16, s57, vcc_lo
	v_lshrrev_b32_e32 v4, 1, v4
	v_and_b32_e32 v4, 0x3ffffff0, v4
	v_max_i32_e32 v12, s45, v4
	s_and_saveexec_b32 s61, s16
	s_cbranch_execz .LBB6_933
; %bb.753:                              ;   in Loop: Header=BB6_752 Depth=2
	v_add_co_u32 v22, vcc_lo, v8, v88
	v_add_co_ci_u32_e64 v23, null, v9, v58, vcc_lo
	v_mov_b32_e32 v21, 0
	s_mov_b32 s72, 1
	s_mov_b32 s63, -1
	s_branch .LBB6_755
.LBB6_754:                              ;   in Loop: Header=BB6_755 Depth=3
	s_or_b32 exec_lo, exec_lo, s16
	v_add_nc_u32_e32 v21, v12, v21
	s_xor_b32 s16, s63, -1
	v_mov_b32_e32 v10, s72
	s_mov_b32 s63, 0
	s_mov_b32 s72, 2
	v_cmp_ge_i32_e32 vcc_lo, v21, v3
	s_or_b32 s16, s16, vcc_lo
	s_and_b32 s16, exec_lo, s16
	s_or_b32 s62, s16, s62
	s_andn2_b32 exec_lo, exec_lo, s62
	s_cbranch_execz .LBB6_932
.LBB6_755:                              ;   Parent Loop BB6_47 Depth=1
                                        ;     Parent Loop BB6_752 Depth=2
                                        ; =>    This Loop Header: Depth=3
                                        ;         Child Loop BB6_763 Depth 4
                                        ;         Child Loop BB6_791 Depth 4
	;; [unrolled: 1-line block ×5, first 2 shown]
                                        ;           Child Loop BB6_843 Depth 5
                                        ;         Child Loop BB6_852 Depth 4
                                        ;         Child Loop BB6_857 Depth 4
                                        ;           Child Loop BB6_858 Depth 5
                                        ;         Child Loop BB6_870 Depth 4
                                        ;         Child Loop BB6_875 Depth 4
	;; [unrolled: 1-line block ×6, first 2 shown]
	s_and_saveexec_b32 s17, s4
	s_cbranch_execz .LBB6_757
; %bb.756:                              ;   in Loop: Header=BB6_755 Depth=3
	s_trap 2
	ds_read_b128 v[8:11], v0
	v_ashrrev_i32_e32 v1, 31, v21
	s_waitcnt lgkmcnt(0)
	v_add_co_u32 v4, vcc_lo, v10, v22
	v_add_co_ci_u32_e64 v5, null, v11, v23, vcc_lo
	v_add_co_u32 v8, vcc_lo, v8, v22
	v_add_co_ci_u32_e64 v9, null, v9, v23, vcc_lo
	;; [unrolled: 2-line block ×3, first 2 shown]
	v_cmp_ne_u64_e32 vcc_lo, 0, v[10:11]
	v_add_co_u32 v8, s16, v8, v21
	v_add_co_ci_u32_e64 v9, null, v9, v1, s16
	v_cndmask_b32_e32 v11, 0, v5, vcc_lo
	v_cndmask_b32_e32 v10, 0, v4, vcc_lo
	ds_write_b64 v0, v[8:9]
	ds_write_b64 v0, v[10:11]
.LBB6_757:                              ;   in Loop: Header=BB6_755 Depth=3
	s_or_b32 exec_lo, exec_lo, s17
	v_sub_nc_u32_e32 v1, v3, v21
	v_and_b32_e32 v4, 12, v116
	s_mov_b32 s17, exec_lo
	v_min_i32_e32 v12, v12, v1
	v_cmpx_ne_u32_e32 0, v4
	s_cbranch_execz .LBB6_783
; %bb.758:                              ;   in Loop: Header=BB6_755 Depth=3
	v_and_b32_e32 v17, 8, v116
	s_mov_b32 s18, exec_lo
	s_waitcnt vmcnt(0) lgkmcnt(1)
	v_add_co_u32 v10, vcc_lo, v64, v17
	v_add_co_ci_u32_e64 v11, null, 0, v65, vcc_lo
	v_add_co_u32 v8, vcc_lo, v80, 2
	v_add_co_ci_u32_e64 v9, null, 0, v81, vcc_lo
	v_cmpx_lt_u64_e64 v[10:11], v[8:9]
	s_cbranch_execz .LBB6_770
; %bb.759:                              ;   in Loop: Header=BB6_755 Depth=3
	v_and_b32_e32 v1, 64, v116
	s_mov_b32 s19, 0
	s_mov_b32 s74, 0
                                        ; implicit-def: $sgpr22
                                        ; implicit-def: $sgpr23
                                        ; implicit-def: $sgpr73
	v_cmp_eq_u32_e32 vcc_lo, 0, v1
	s_branch .LBB6_763
.LBB6_760:                              ;   in Loop: Header=BB6_763 Depth=4
	s_waitcnt vmcnt(0) lgkmcnt(0)
	v_add_co_u32 v13, s16, v64, v17
	v_add_co_ci_u32_e64 v14, null, 0, v65, s16
	s_or_b32 s77, s77, exec_lo
	v_cmp_ge_u64_e64 s16, v[13:14], v[8:9]
	s_orn2_b32 s76, s16, exec_lo
.LBB6_761:                              ;   in Loop: Header=BB6_763 Depth=4
	s_or_b32 exec_lo, exec_lo, s79
	s_andn2_b32 s16, s73, exec_lo
	s_and_b32 s73, s77, exec_lo
	s_andn2_b32 s23, s23, exec_lo
	s_and_b32 s76, s76, exec_lo
	s_or_b32 s73, s16, s73
	s_or_b32 s23, s23, s76
.LBB6_762:                              ;   in Loop: Header=BB6_763 Depth=4
	s_or_b32 exec_lo, exec_lo, s75
	s_and_b32 s16, exec_lo, s23
	s_or_b32 s19, s16, s19
	s_andn2_b32 s16, s22, exec_lo
	s_and_b32 s22, s73, exec_lo
	s_or_b32 s22, s16, s22
	s_andn2_b32 exec_lo, exec_lo, s19
	s_cbranch_execz .LBB6_767
.LBB6_763:                              ;   Parent Loop BB6_47 Depth=1
                                        ;     Parent Loop BB6_752 Depth=2
                                        ;       Parent Loop BB6_755 Depth=3
                                        ; =>      This Inner Loop Header: Depth=4
	s_sleep 1
	s_waitcnt vmcnt(0) lgkmcnt(0)
	flat_load_dwordx2 v[64:65], v[48:49] glc dlc
	s_or_b32 s73, s73, exec_lo
	s_or_b32 s23, s23, exec_lo
                                        ; implicit-def: $vgpr10
	s_and_saveexec_b32 s75, vcc_lo
	s_cbranch_execz .LBB6_762
; %bb.764:                              ;   in Loop: Header=BB6_763 Depth=4
	s_cmpk_lt_i32 s74, 0x270f
	s_mov_b32 s76, -1
	s_cselect_b32 s78, -1, 0
	s_cmpk_gt_i32 s74, 0x270e
	s_cbranch_scc0 .LBB6_766
; %bb.765:                              ;   in Loop: Header=BB6_763 Depth=4
	s_trap 2
	ds_read_b64 v[10:11], v0
	s_andn2_b32 s74, s78, exec_lo
	s_mov_b32 s77, 0
	s_waitcnt vmcnt(0) lgkmcnt(0)
	s_waitcnt_vscnt null, 0x0
	flat_load_dword v10, v[10:11] glc dlc
	s_waitcnt vmcnt(0) lgkmcnt(0)
	buffer_gl1_inv
	buffer_gl0_inv
	v_cmp_eq_u32_e64 s16, 0, v10
	s_and_b32 s16, s16, exec_lo
	s_or_b32 s78, s74, s16
	s_mov_b32 s74, 0
	s_and_saveexec_b32 s79, s78
	s_cbranch_execz .LBB6_761
	s_branch .LBB6_760
.LBB6_766:                              ;   in Loop: Header=BB6_763 Depth=4
	s_add_i32 s74, s74, 1
	s_mov_b32 s77, -1
                                        ; implicit-def: $vgpr10
	s_and_saveexec_b32 s79, s78
	s_cbranch_execz .LBB6_761
	s_branch .LBB6_760
.LBB6_767:                              ;   in Loop: Header=BB6_755 Depth=3
	s_or_b32 exec_lo, exec_lo, s19
	s_xor_b32 s16, s22, -1
	s_and_saveexec_b32 s19, s16
	s_xor_b32 s16, exec_lo, s19
	s_cbranch_execz .LBB6_769
; %bb.768:                              ;   in Loop: Header=BB6_755 Depth=3
	v_or_b32_e32 v116, 64, v116
	s_waitcnt vmcnt(0) lgkmcnt(0)
	s_waitcnt_vscnt null, 0x0
	ds_write_b32 v0, v10
	s_trap 2
.LBB6_769:                              ;   in Loop: Header=BB6_755 Depth=3
	s_or_b32 exec_lo, exec_lo, s16
.LBB6_770:                              ;   in Loop: Header=BB6_755 Depth=3
	s_or_b32 exec_lo, exec_lo, s18
	v_and_b32_e32 v1, 0x108, v116
	s_mov_b32 s16, exec_lo
	;;#ASMSTART
	s_wakeup
	;;#ASMEND
                                        ; implicit-def: $vgpr10_vgpr11
	v_cmpx_ne_u32_e32 0x108, v1
	s_xor_b32 s16, exec_lo, s16
; %bb.771:                              ;   in Loop: Header=BB6_755 Depth=3
	v_and_b32_e32 v10, 7, v80
	v_mov_b32_e32 v11, v2
                                        ; implicit-def: $vgpr80_vgpr81
; %bb.772:                              ;   in Loop: Header=BB6_755 Depth=3
	s_andn2_saveexec_b32 s16, s16
	s_cbranch_execz .LBB6_774
; %bb.773:                              ;   in Loop: Header=BB6_755 Depth=3
	v_and_b32_e32 v10, 7, v80
	v_ashrrev_i32_e32 v13, 31, v12
	v_mov_b32_e32 v11, v2
	v_mad_u64_u32 v[14:15], null, v10, 24, v[6:7]
	flat_store_dwordx2 v[14:15], v[12:13] offset:8
.LBB6_774:                              ;   in Loop: Header=BB6_755 Depth=3
	s_or_b32 exec_lo, exec_lo, s16
	v_and_b32_e32 v1, 0x100, v116
	s_mov_b32 s16, -1
	s_mov_b32 s18, exec_lo
                                        ; implicit-def: $vgpr13_vgpr14
	v_cmpx_ne_u32_e32 0, v1
	s_cbranch_execz .LBB6_778
; %bb.775:                              ;   in Loop: Header=BB6_755 Depth=3
	v_mad_u64_u32 v[15:16], null, v10, 24, v[6:7]
	s_mov_b32 s19, exec_lo
	v_mov_b32_e32 v13, v16
	v_mad_u64_u32 v[13:14], null, v11, 24, v[13:14]
	v_mov_b32_e32 v16, v13
                                        ; implicit-def: $vgpr13_vgpr14
	flat_load_dword v1, v[15:16]
	s_waitcnt vmcnt(0) lgkmcnt(0)
	v_cmp_ne_u32_e32 vcc_lo, 1, v1
	v_cmpx_eq_u32_e32 1, v1
	s_cbranch_execz .LBB6_777
; %bb.776:                              ;   in Loop: Header=BB6_755 Depth=3
	flat_load_dword v13, v[15:16] offset:4 glc dlc
	s_waitcnt vmcnt(0) lgkmcnt(0)
	v_ashrrev_i32_e32 v14, 31, v13
.LBB6_777:                              ;   in Loop: Header=BB6_755 Depth=3
	s_or_b32 exec_lo, exec_lo, s19
	s_orn2_b32 s16, vcc_lo, exec_lo
.LBB6_778:                              ;   in Loop: Header=BB6_755 Depth=3
	s_or_b32 exec_lo, exec_lo, s18
	s_and_saveexec_b32 s18, s16
; %bb.779:                              ;   in Loop: Header=BB6_755 Depth=3
	v_mul_lo_u32 v1, v11, v117
	v_mul_lo_u32 v4, v10, v118
	v_mad_u64_u32 v[13:14], null, v10, v117, 0
	v_add3_u32 v14, v14, v4, v1
; %bb.780:                              ;   in Loop: Header=BB6_755 Depth=3
	s_or_b32 exec_lo, exec_lo, s18
	v_cmp_eq_u32_e32 vcc_lo, 0, v17
	v_and_b32_e32 v4, 0x2000, v116
	s_mov_b32 s16, exec_lo
	v_cndmask_b32_e32 v1, 0xd0, v79, vcc_lo
	v_add_co_u32 v10, vcc_lo, v50, v13
	v_add_co_ci_u32_e64 v11, null, v51, v14, vcc_lo
	v_add_nc_u32_e32 v1, v0, v1
	ds_write_b64 v1, v[10:11] offset:584
	v_cmpx_ne_u32_e32 0, v4
	s_cbranch_execz .LBB6_782
; %bb.781:                              ;   in Loop: Header=BB6_755 Depth=3
	ds_read_b64 v[10:11], v0 offset:872
	s_waitcnt lgkmcnt(0)
	v_add_co_u32 v10, vcc_lo, v10, 1
	v_add_co_ci_u32_e64 v11, null, 0, v11, vcc_lo
	ds_write_b64 v0, v[10:11] offset:872
.LBB6_782:                              ;   in Loop: Header=BB6_755 Depth=3
	s_or_b32 exec_lo, exec_lo, s16
	v_mov_b32_e32 v81, v9
	v_mov_b32_e32 v80, v8
.LBB6_783:                              ;   in Loop: Header=BB6_755 Depth=3
	s_or_b32 exec_lo, exec_lo, s17
	s_and_saveexec_b32 s16, s6
	s_cbranch_execz .LBB6_802
; %bb.784:                              ;   in Loop: Header=BB6_755 Depth=3
	s_and_saveexec_b32 s17, s29
	s_xor_b32 s17, exec_lo, s17
	s_cbranch_execz .LBB6_799
; %bb.785:                              ;   in Loop: Header=BB6_755 Depth=3
	s_and_saveexec_b32 s18, s11
	s_cbranch_execz .LBB6_798
; %bb.786:                              ;   in Loop: Header=BB6_755 Depth=3
	s_mov_b32 s22, exec_lo
	s_mov_b32 s19, exec_lo
	v_mbcnt_lo_u32_b32 v1, s22, 0
	s_waitcnt vmcnt(0) lgkmcnt(0)
	s_waitcnt_vscnt null, 0x0
	buffer_gl1_inv
	buffer_gl0_inv
	v_cmpx_eq_u32_e32 0, v1
	s_cbranch_execz .LBB6_788
; %bb.787:                              ;   in Loop: Header=BB6_755 Depth=3
	s_bcnt1_i32_b32 s22, s22
	v_mov_b32_e32 v9, v2
	v_mov_b32_e32 v8, s22
	ds_add_u64 v0, v[8:9]
	s_trap 2
.LBB6_788:                              ;   in Loop: Header=BB6_755 Depth=3
	s_or_b32 exec_lo, exec_lo, s19
	s_trap 2
	ds_read_b64 v[8:9], v0
	s_waitcnt lgkmcnt(0)
	buffer_gl0_inv
	v_add_co_u32 v54, vcc_lo, v54, v119
	v_add_co_ci_u32_e64 v55, null, 0, v55, vcc_lo
	s_mov_b32 s19, exec_lo
	v_cmpx_lt_u64_e64 v[8:9], v[54:55]
	s_cbranch_execz .LBB6_797
; %bb.789:                              ;   in Loop: Header=BB6_755 Depth=3
	s_mov_b32 s22, 0
	s_mov_b32 s74, 0
                                        ; implicit-def: $sgpr23
                                        ; implicit-def: $sgpr73
	s_inst_prefetch 0x1
	s_branch .LBB6_791
	.p2align	6
.LBB6_790:                              ;   in Loop: Header=BB6_791 Depth=4
	s_or_b32 exec_lo, exec_lo, s76
	s_and_b32 s75, exec_lo, s77
	s_or_b32 s22, s75, s22
	s_andn2_b32 s23, s23, exec_lo
	s_and_b32 s75, s73, exec_lo
	s_or_b32 s23, s23, s75
	s_andn2_b32 exec_lo, exec_lo, s22
	s_cbranch_execz .LBB6_795
.LBB6_791:                              ;   Parent Loop BB6_47 Depth=1
                                        ;     Parent Loop BB6_752 Depth=2
                                        ;       Parent Loop BB6_755 Depth=3
                                        ; =>      This Inner Loop Header: Depth=4
	s_add_i32 s74, s74, 1
	s_cmpk_lg_i32 s74, 0x2710
	s_cselect_b32 s75, -1, 0
	s_and_b32 vcc_lo, exec_lo, s75
	s_cbranch_vccz .LBB6_793
; %bb.792:                              ;   in Loop: Header=BB6_791 Depth=4
	s_mov_b32 s77, -1
	s_or_b32 s73, s73, exec_lo
	s_and_saveexec_b32 s76, s75
	s_cbranch_execz .LBB6_790
	s_branch .LBB6_794
	.p2align	6
.LBB6_793:                              ;   in Loop: Header=BB6_791 Depth=4
	s_trap 2
	ds_read_b64 v[8:9], v0
	s_andn2_b32 s75, s75, exec_lo
	s_mov_b32 s74, 0
	s_waitcnt lgkmcnt(0)
	flat_load_dword v1, v[8:9] glc dlc
	s_waitcnt vmcnt(0) lgkmcnt(0)
	buffer_gl1_inv
	buffer_gl0_inv
	v_cmp_eq_u32_e32 vcc_lo, 0, v1
	s_and_b32 s76, vcc_lo, exec_lo
	s_or_b32 s75, s75, s76
	s_mov_b32 s77, -1
	s_or_b32 s73, s73, exec_lo
	s_and_saveexec_b32 s76, s75
	s_cbranch_execz .LBB6_790
.LBB6_794:                              ;   in Loop: Header=BB6_791 Depth=4
	s_sleep 1
	s_trap 2
	ds_read_b64 v[8:9], v0
	s_waitcnt lgkmcnt(0)
	buffer_gl0_inv
	s_andn2_b32 s73, s73, exec_lo
	v_cmp_ge_u64_e32 vcc_lo, v[8:9], v[54:55]
	s_orn2_b32 s77, vcc_lo, exec_lo
	s_branch .LBB6_790
.LBB6_795:                              ;   in Loop: Header=BB6_755 Depth=3
	s_inst_prefetch 0x2
	s_or_b32 exec_lo, exec_lo, s22
	s_and_saveexec_b32 s22, s23
	s_xor_b32 s22, exec_lo, s22
	s_cbranch_execz .LBB6_797
; %bb.796:                              ;   in Loop: Header=BB6_755 Depth=3
	ds_write_b32 v0, v41
	s_trap 2
.LBB6_797:                              ;   in Loop: Header=BB6_755 Depth=3
	s_or_b32 exec_lo, exec_lo, s19
	;;#ASMSTART
	s_wakeup
	;;#ASMEND
.LBB6_798:                              ;   in Loop: Header=BB6_755 Depth=3
	s_or_b32 exec_lo, exec_lo, s18
.LBB6_799:                              ;   in Loop: Header=BB6_755 Depth=3
	s_andn2_saveexec_b32 s17, s17
	s_cbranch_execz .LBB6_801
; %bb.800:                              ;   in Loop: Header=BB6_755 Depth=3
	s_waitcnt vmcnt(0) lgkmcnt(0)
	s_waitcnt_vscnt null, 0x0
	buffer_gl1_inv
	buffer_gl0_inv
	s_barrier
.LBB6_801:                              ;   in Loop: Header=BB6_755 Depth=3
	s_or_b32 exec_lo, exec_lo, s17
.LBB6_802:                              ;   in Loop: Header=BB6_755 Depth=3
	s_or_b32 exec_lo, exec_lo, s16
	s_trap 2
	ds_read_b32 v8, v0
	v_and_b32_e32 v1, 0x4000, v116
	s_xor_b32 s16, s5, -1
	v_cmp_ne_u32_e32 vcc_lo, 0, v1
	s_and_b32 s17, s16, vcc_lo
	s_and_saveexec_b32 s16, s17
	s_cbranch_execz .LBB6_821
; %bb.803:                              ;   in Loop: Header=BB6_755 Depth=3
	s_and_saveexec_b32 s17, s29
	s_xor_b32 s17, exec_lo, s17
	s_cbranch_execz .LBB6_818
; %bb.804:                              ;   in Loop: Header=BB6_755 Depth=3
	s_and_saveexec_b32 s18, s11
	s_cbranch_execz .LBB6_817
; %bb.805:                              ;   in Loop: Header=BB6_755 Depth=3
	s_mov_b32 s22, exec_lo
	s_mov_b32 s19, exec_lo
	v_mbcnt_lo_u32_b32 v1, s22, 0
	s_waitcnt vmcnt(0) lgkmcnt(0)
	s_waitcnt_vscnt null, 0x0
	buffer_gl1_inv
	buffer_gl0_inv
	v_cmpx_eq_u32_e32 0, v1
	s_cbranch_execz .LBB6_807
; %bb.806:                              ;   in Loop: Header=BB6_755 Depth=3
	s_bcnt1_i32_b32 s22, s22
	v_mov_b32_e32 v10, v2
	v_mov_b32_e32 v9, s22
	ds_add_u64 v0, v[9:10]
	s_trap 2
.LBB6_807:                              ;   in Loop: Header=BB6_755 Depth=3
	s_or_b32 exec_lo, exec_lo, s19
	s_trap 2
	ds_read_b64 v[9:10], v0
	s_waitcnt lgkmcnt(0)
	buffer_gl0_inv
	v_add_co_u32 v54, vcc_lo, v54, v119
	v_add_co_ci_u32_e64 v55, null, 0, v55, vcc_lo
	s_mov_b32 s19, exec_lo
	v_cmpx_lt_u64_e64 v[9:10], v[54:55]
	s_cbranch_execz .LBB6_816
; %bb.808:                              ;   in Loop: Header=BB6_755 Depth=3
	s_mov_b32 s22, 0
	s_mov_b32 s74, 0
                                        ; implicit-def: $sgpr23
                                        ; implicit-def: $sgpr73
	s_inst_prefetch 0x1
	s_branch .LBB6_810
	.p2align	6
.LBB6_809:                              ;   in Loop: Header=BB6_810 Depth=4
	s_or_b32 exec_lo, exec_lo, s76
	s_and_b32 s75, exec_lo, s77
	s_or_b32 s22, s75, s22
	s_andn2_b32 s23, s23, exec_lo
	s_and_b32 s75, s73, exec_lo
	s_or_b32 s23, s23, s75
	s_andn2_b32 exec_lo, exec_lo, s22
	s_cbranch_execz .LBB6_814
.LBB6_810:                              ;   Parent Loop BB6_47 Depth=1
                                        ;     Parent Loop BB6_752 Depth=2
                                        ;       Parent Loop BB6_755 Depth=3
                                        ; =>      This Inner Loop Header: Depth=4
	s_add_i32 s74, s74, 1
	s_cmpk_lg_i32 s74, 0x2710
	s_cselect_b32 s75, -1, 0
	s_and_b32 vcc_lo, exec_lo, s75
	s_cbranch_vccz .LBB6_812
; %bb.811:                              ;   in Loop: Header=BB6_810 Depth=4
	s_mov_b32 s77, -1
	s_or_b32 s73, s73, exec_lo
	s_and_saveexec_b32 s76, s75
	s_cbranch_execz .LBB6_809
	s_branch .LBB6_813
	.p2align	6
.LBB6_812:                              ;   in Loop: Header=BB6_810 Depth=4
	s_trap 2
	ds_read_b64 v[9:10], v0
	s_andn2_b32 s75, s75, exec_lo
	s_mov_b32 s74, 0
	s_waitcnt lgkmcnt(0)
	flat_load_dword v1, v[9:10] glc dlc
	s_waitcnt vmcnt(0) lgkmcnt(0)
	buffer_gl1_inv
	buffer_gl0_inv
	v_cmp_eq_u32_e32 vcc_lo, 0, v1
	s_and_b32 s76, vcc_lo, exec_lo
	s_or_b32 s75, s75, s76
	s_mov_b32 s77, -1
	s_or_b32 s73, s73, exec_lo
	s_and_saveexec_b32 s76, s75
	s_cbranch_execz .LBB6_809
.LBB6_813:                              ;   in Loop: Header=BB6_810 Depth=4
	s_sleep 1
	s_trap 2
	ds_read_b64 v[9:10], v0
	s_waitcnt lgkmcnt(0)
	buffer_gl0_inv
	s_andn2_b32 s73, s73, exec_lo
	v_cmp_ge_u64_e32 vcc_lo, v[9:10], v[54:55]
	s_orn2_b32 s77, vcc_lo, exec_lo
	s_branch .LBB6_809
.LBB6_814:                              ;   in Loop: Header=BB6_755 Depth=3
	s_inst_prefetch 0x2
	s_or_b32 exec_lo, exec_lo, s22
	s_and_saveexec_b32 s22, s23
	s_xor_b32 s22, exec_lo, s22
	s_cbranch_execz .LBB6_816
; %bb.815:                              ;   in Loop: Header=BB6_755 Depth=3
	ds_write_b32 v0, v41
	s_trap 2
.LBB6_816:                              ;   in Loop: Header=BB6_755 Depth=3
	s_or_b32 exec_lo, exec_lo, s19
	;;#ASMSTART
	s_wakeup
	;;#ASMEND
.LBB6_817:                              ;   in Loop: Header=BB6_755 Depth=3
	s_or_b32 exec_lo, exec_lo, s18
.LBB6_818:                              ;   in Loop: Header=BB6_755 Depth=3
	s_andn2_saveexec_b32 s17, s17
	s_cbranch_execz .LBB6_820
; %bb.819:                              ;   in Loop: Header=BB6_755 Depth=3
	s_waitcnt vmcnt(0) lgkmcnt(0)
	s_waitcnt_vscnt null, 0x0
	buffer_gl1_inv
	buffer_gl0_inv
	s_barrier
.LBB6_820:                              ;   in Loop: Header=BB6_755 Depth=3
	s_or_b32 exec_lo, exec_lo, s17
.LBB6_821:                              ;   in Loop: Header=BB6_755 Depth=3
	s_or_b32 exec_lo, exec_lo, s16
	s_trap 2
	ds_read_b64 v[13:14], v0
	s_waitcnt lgkmcnt(0)
	v_cmp_eq_u64_e32 vcc_lo, 0, v[13:14]
	s_cbranch_vccnz .LBB6_830
; %bb.822:                              ;   in Loop: Header=BB6_755 Depth=3
	s_trap 2
	ds_read_b64 v[15:16], v0
	s_waitcnt lgkmcnt(0)
	v_cmp_eq_u64_e32 vcc_lo, 0, v[15:16]
	s_cbranch_vccnz .LBB6_830
; %bb.823:                              ;   in Loop: Header=BB6_755 Depth=3
	s_trap 2
	ds_read_b64 v[17:18], v0
	v_cmp_eq_u32_e64 s16, 0, v8
	v_cndmask_b32_e64 v24, 0, v12, s16
	s_mov_b32 s16, -1
	s_waitcnt lgkmcnt(0)
	v_cmp_ne_u64_e32 vcc_lo, 0, v[17:18]
	s_cbranch_vccz .LBB6_861
; %bb.824:                              ;   in Loop: Header=BB6_755 Depth=3
	s_and_saveexec_b32 s17, s14
	s_cbranch_execz .LBB6_826
; %bb.825:                              ;   in Loop: Header=BB6_755 Depth=3
	ds_read_b32 v1, v0 offset:720
	s_waitcnt lgkmcnt(0)
	v_and_b32_e32 v1, 15, v1
	v_cmp_eq_u32_e32 vcc_lo, 0, v1
	s_orn2_b32 s16, vcc_lo, exec_lo
.LBB6_826:                              ;   in Loop: Header=BB6_755 Depth=3
	s_or_b32 exec_lo, exec_lo, s17
	s_and_saveexec_b32 s17, s15
	s_cbranch_execz .LBB6_828
; %bb.827:                              ;   in Loop: Header=BB6_755 Depth=3
	ds_read_b32 v1, v0 offset:784
	s_waitcnt lgkmcnt(0)
	v_and_b32_e32 v1, 15, v1
	v_cmp_eq_u32_e32 vcc_lo, 0, v1
	s_and_b32 s18, s16, vcc_lo
	s_andn2_b32 s16, s16, exec_lo
	s_and_b32 s18, s18, exec_lo
	s_or_b32 s16, s16, s18
.LBB6_828:                              ;   in Loop: Header=BB6_755 Depth=3
	s_or_b32 exec_lo, exec_lo, s17
	s_xor_b32 s16, s16, -1
	v_mov_b32_e32 v19, 0
	v_cndmask_b32_e64 v1, 0, 1, s16
	v_mov_b32_e32 v20, v24
	v_mov_b32_e32 v25, v0
	;; [unrolled: 1-line block ×3, first 2 shown]
	s_mov_b32 s16, -1
	v_cmp_ne_u32_e32 vcc_lo, 0, v1
	s_cbranch_vccz .LBB6_835
; %bb.829:                              ;   in Loop: Header=BB6_755 Depth=3
	s_and_saveexec_b32 s22, s16
	s_cbranch_execnz .LBB6_850
	s_branch .LBB6_860
.LBB6_830:                              ;   in Loop: Header=BB6_755 Depth=3
	s_mov_b32 s16, 0
	s_and_saveexec_b32 s17, s6
	s_cbranch_execnz .LBB6_891
.LBB6_831:                              ;   in Loop: Header=BB6_755 Depth=3
	s_or_b32 exec_lo, exec_lo, s17
                                        ; implicit-def: $vgpr8
	s_and_saveexec_b32 s17, s13
	s_xor_b32 s17, exec_lo, s17
	s_cbranch_execz .LBB6_909
.LBB6_832:                              ;   in Loop: Header=BB6_755 Depth=3
	v_and_b32_e32 v1, 16, v116
	v_and_b32_e32 v8, 16, v116
	v_cmp_ne_u32_e32 vcc_lo, 0, v1
	s_and_b32 s18, vcc_lo, s16
	s_and_saveexec_b32 s16, s18
	s_cbranch_execz .LBB6_834
; %bb.833:                              ;   in Loop: Header=BB6_755 Depth=3
	v_mov_b32_e32 v8, 1
	s_waitcnt vmcnt(0) lgkmcnt(0)
	s_waitcnt_vscnt null, 0x0
	buffer_gl1_inv
	buffer_gl0_inv
.LBB6_834:                              ;   in Loop: Header=BB6_755 Depth=3
	s_or_b32 exec_lo, exec_lo, s16
	s_andn2_saveexec_b32 s16, s17
	s_cbranch_execz .LBB6_928
	s_branch .LBB6_910
.LBB6_835:                              ;   in Loop: Header=BB6_755 Depth=3
	v_ashrrev_i32_e32 v1, 31, v24
	s_mov_b32 s17, exec_lo
	v_lshrrev_b32_e32 v1, 21, v1
	v_add_nc_u32_e32 v1, v24, v1
	v_ashrrev_i32_e32 v25, 11, v1
	v_sub_nc_u32_e32 v27, v25, v60
	v_cmpx_lt_i32_e32 0, v27
	s_cbranch_execz .LBB6_839
; %bb.836:                              ;   in Loop: Header=BB6_755 Depth=3
	s_clause 0x1
	buffer_load_dword v1, off, s[0:3], s33 offset:208
	buffer_load_dword v4, off, s[0:3], s33 offset:212
	s_mov_b32 s18, 0
	s_waitcnt vmcnt(1)
	v_add_co_u32 v8, vcc_lo, v13, v1
	s_waitcnt vmcnt(0)
	v_add_co_ci_u32_e64 v9, null, v14, v4, vcc_lo
	v_add_co_u32 v10, vcc_lo, v15, v1
	v_add_co_ci_u32_e64 v11, null, v16, v4, vcc_lo
	v_add_co_u32 v19, vcc_lo, v17, v1
	v_add_co_ci_u32_e64 v20, null, v18, v4, vcc_lo
	s_inst_prefetch 0x1
	.p2align	6
.LBB6_837:                              ;   Parent Loop BB6_47 Depth=1
                                        ;     Parent Loop BB6_752 Depth=2
                                        ;       Parent Loop BB6_755 Depth=3
                                        ; =>      This Inner Loop Header: Depth=4
	s_clause 0x3
	global_load_dwordx4 v[32:35], v[8:9], off slc
	global_load_dwordx4 v[84:87], v[8:9], off offset:512 slc
	global_load_dwordx4 v[96:99], v[8:9], off offset:1024 slc
	;; [unrolled: 1-line block ×3, first 2 shown]
	v_sub_nc_u32_e32 v27, v27, v119
	v_add_co_u32 v8, vcc_lo, v8, v56
	v_add_co_ci_u32_e64 v9, null, 0, v9, vcc_lo
	v_cmp_gt_i32_e32 vcc_lo, 1, v27
	s_waitcnt vmcnt(3)
	global_store_dwordx4 v[10:11], v[32:35], off glc slc
	s_waitcnt vmcnt(2)
	global_store_dwordx4 v[10:11], v[84:87], off offset:512 glc slc
	s_waitcnt vmcnt(1)
	global_store_dwordx4 v[10:11], v[96:99], off offset:1024 glc slc
	;; [unrolled: 2-line block ×3, first 2 shown]
	global_store_dwordx4 v[19:20], v[32:35], off glc slc
	global_store_dwordx4 v[19:20], v[84:87], off offset:512 glc slc
	global_store_dwordx4 v[19:20], v[96:99], off offset:1024 glc slc
	;; [unrolled: 1-line block ×3, first 2 shown]
	v_add_co_u32 v10, s16, v10, v56
	v_add_co_ci_u32_e64 v11, null, 0, v11, s16
	v_add_co_u32 v19, s16, v19, v56
	v_add_co_ci_u32_e64 v20, null, 0, v20, s16
	s_or_b32 s18, vcc_lo, s18
	s_andn2_b32 exec_lo, exec_lo, s18
	s_cbranch_execnz .LBB6_837
; %bb.838:                              ;   in Loop: Header=BB6_755 Depth=3
	s_inst_prefetch 0x2
	s_or_b32 exec_lo, exec_lo, s18
.LBB6_839:                              ;   in Loop: Header=BB6_755 Depth=3
	s_or_b32 exec_lo, exec_lo, s17
	v_lshlrev_b32_e32 v26, 11, v25
	v_mov_b32_e32 v19, 0
	s_mov_b32 s16, 0
	s_mov_b32 s19, exec_lo
                                        ; implicit-def: $vgpr20
                                        ; implicit-def: $vgpr25
                                        ; implicit-def: $vgpr8
	v_cmpx_ne_u32_e64 v24, v26
	s_cbranch_execz .LBB6_849
; %bb.840:                              ;   in Loop: Header=BB6_755 Depth=3
	buffer_load_dword v4, off, s[0:3], s33 offset:188 ; 4-byte Folded Reload
	v_lshlrev_b32_e32 v1, 5, v27
	v_sub_nc_u32_e32 v5, v24, v26
	v_ashrrev_i32_e32 v8, 31, v5
	v_lshrrev_b32_e32 v8, 23, v8
	v_add_nc_u32_e32 v8, v5, v8
	v_and_b32_e32 v27, 0xfffffe00, v8
	v_sub_nc_u32_e32 v33, v5, v27
	v_cmp_lt_i32_e64 s16, 15, v33
	s_waitcnt vmcnt(0)
	v_sub_nc_u32_e32 v1, v4, v1
	v_ashrrev_i32_e32 v4, 31, v1
	v_lshrrev_b32_e32 v4, 27, v4
	v_add_nc_u32_e32 v4, v1, v4
	v_and_b32_e32 v9, 0xffffffe0, v4
	v_sub_nc_u32_e32 v32, v1, v9
	v_ashrrev_i32_e32 v1, 5, v4
	v_ashrrev_i32_e32 v9, 9, v8
	v_lshlrev_b32_e32 v4, 4, v32
	v_lshl_add_u32 v8, v1, 9, v4
	v_add_co_ci_u32_e64 v4, null, 0, v9, s16
	v_sub_nc_u32_e32 v25, v5, v8
	v_sub_nc_u32_e32 v34, v4, v1
	v_cmp_lt_i32_e32 vcc_lo, 15, v25
	s_mov_b32 s73, exec_lo
	v_add_nc_u32_e32 v5, 0xfffffe00, v46
	s_and_b32 s17, s73, vcc_lo
	s_mov_b32 exec_lo, s17
	s_cbranch_execz .LBB6_846
; %bb.841:                              ;   in Loop: Header=BB6_755 Depth=3
	v_add_nc_u32_e32 v1, v8, v26
	s_mov_b32 s74, 0
	v_ashrrev_i32_e32 v4, 31, v1
	v_add_co_u32 v19, vcc_lo, v1, v13
	v_add_co_ci_u32_e64 v20, null, v4, v14, vcc_lo
	v_add_co_u32 v35, vcc_lo, v1, v15
	v_add_co_ci_u32_e64 v84, null, v4, v16, vcc_lo
	;; [unrolled: 2-line block ×3, first 2 shown]
	s_inst_prefetch 0x1
	.p2align	6
.LBB6_842:                              ;   Parent Loop BB6_47 Depth=1
                                        ;     Parent Loop BB6_752 Depth=2
                                        ;       Parent Loop BB6_755 Depth=3
                                        ; =>      This Loop Header: Depth=4
                                        ;           Child Loop BB6_843 Depth 5
	global_load_dwordx4 v[8:11], v[19:20], off slc
	s_mov_b64 s[22:23], 0
	s_mov_b32 s75, -1
	.p2align	6
.LBB6_843:                              ;   Parent Loop BB6_47 Depth=1
                                        ;     Parent Loop BB6_752 Depth=2
                                        ;       Parent Loop BB6_755 Depth=3
                                        ;         Parent Loop BB6_842 Depth=4
                                        ; =>        This Inner Loop Header: Depth=5
	s_cmp_eq_u32 s22, 1
	s_cselect_b32 vcc_lo, -1, 0
	s_cmp_eq_u32 s22, 0
	v_cndmask_b32_e32 v96, v35, v85, vcc_lo
	v_cndmask_b32_e32 v97, v84, v86, vcc_lo
	s_mov_b64 s[22:23], 1
	v_add_co_u32 v1, s17, 0x200, v96
	v_add_co_ci_u32_e64 v4, null, 0, v97, s17
	s_cselect_b32 s17, -1, 0
	v_cndmask_b32_e32 v85, v85, v1, vcc_lo
	v_cndmask_b32_e64 v35, v35, v1, s17
	v_cndmask_b32_e32 v86, v86, v4, vcc_lo
	v_cndmask_b32_e64 v84, v84, v4, s17
	s_and_b32 s18, exec_lo, s75
	s_mov_b32 s75, 0
	s_mov_b32 vcc_lo, s18
	s_waitcnt vmcnt(0)
	global_store_dwordx4 v[96:97], v[8:11], off glc slc
	s_cbranch_vccnz .LBB6_843
; %bb.844:                              ;   in Loop: Header=BB6_842 Depth=4
	v_sub_nc_u32_e32 v25, v25, v46
	v_add_co_u32 v35, vcc_lo, v35, v5
	v_add_co_ci_u32_e64 v84, null, v84, v61, vcc_lo
	v_add_co_u32 v85, vcc_lo, v85, v5
	v_add_co_ci_u32_e64 v86, null, v86, v61, vcc_lo
	v_cmp_gt_i32_e32 vcc_lo, 16, v25
	v_add_co_u32 v19, s17, v74, v19
	v_add_co_ci_u32_e64 v20, null, v75, v20, s17
	v_sub_nc_u32_e32 v34, v34, v119
	s_or_b32 s74, vcc_lo, s74
	s_andn2_b32 exec_lo, exec_lo, s74
	s_cbranch_execnz .LBB6_842
; %bb.845:                              ;   in Loop: Header=BB6_755 Depth=3
	s_inst_prefetch 0x2
	s_or_b32 exec_lo, exec_lo, s74
.LBB6_846:                              ;   in Loop: Header=BB6_755 Depth=3
	s_or_b32 exec_lo, exec_lo, s73
	v_and_b32_e32 v9, 15, v24
	v_mov_b32_e32 v19, 0
	s_mov_b32 s17, 0
	s_mov_b32 s18, exec_lo
                                        ; implicit-def: $vgpr25
                                        ; implicit-def: $vgpr8
	v_cndmask_b32_e64 v20, v33, v9, s16
	v_cmpx_ne_u32_e32 0, v20
	s_cbranch_execz .LBB6_848
; %bb.847:                              ;   in Loop: Header=BB6_755 Depth=3
	v_cmp_lt_i32_e32 vcc_lo, 0, v34
	v_sub_nc_u32_e32 v4, v33, v9
	s_mov_b32 s17, exec_lo
	v_cndmask_b32_e32 v1, 0, v119, vcc_lo
	v_cndmask_b32_e64 v4, 0, v4, s16
	v_sub_nc_u32_e32 v1, v1, v34
	v_add3_u32 v19, v27, v26, v4
	v_lshl_add_u32 v25, v1, 5, v32
	v_ashrrev_i32_e32 v1, 31, v25
	v_lshrrev_b32_e32 v1, 27, v1
	v_add_nc_u32_e32 v1, v25, v1
	v_ashrrev_i32_e32 v8, 5, v1
.LBB6_848:                              ;   in Loop: Header=BB6_755 Depth=3
	s_or_b32 exec_lo, exec_lo, s18
	s_and_b32 s16, s17, exec_lo
.LBB6_849:                              ;   in Loop: Header=BB6_755 Depth=3
	s_or_b32 exec_lo, exec_lo, s19
	s_and_saveexec_b32 s22, s16
	s_cbranch_execz .LBB6_860
.LBB6_850:                              ;   in Loop: Header=BB6_755 Depth=3
	v_ashrrev_i32_e32 v1, 31, v20
	s_mov_b32 s16, exec_lo
	v_lshrrev_b32_e32 v1, 22, v1
	v_add_nc_u32_e32 v1, v20, v1
	v_ashrrev_i32_e32 v32, 10, v1
	v_ashrrev_i32_e32 v1, 31, v25
	v_sub_nc_u32_e32 v26, v32, v8
	v_lshrrev_b32_e32 v27, 27, v1
	v_cmpx_lt_i32_e32 0, v26
	s_cbranch_execz .LBB6_854
; %bb.851:                              ;   in Loop: Header=BB6_755 Depth=3
	v_add_nc_u32_e32 v1, v25, v27
	v_lshlrev_b32_e32 v4, 10, v8
	v_add_co_u32 v5, vcc_lo, 0x3e0, v13
	v_add_co_ci_u32_e64 v28, null, 0, v14, vcc_lo
	v_and_b32_e32 v1, 0xffffffe0, v1
	s_mov_b32 s17, 0
	v_sub_nc_u32_e32 v1, v25, v1
	v_add3_u32 v1, v19, v1, v4
	v_ashrrev_i32_e32 v4, 31, v1
	v_add_co_u32 v8, vcc_lo, v1, v15
	v_add_co_ci_u32_e64 v9, null, v4, v16, vcc_lo
	v_add_co_u32 v10, vcc_lo, v1, v17
	v_add_co_ci_u32_e64 v11, null, v4, v18, vcc_lo
	;; [unrolled: 2-line block ×3, first 2 shown]
.LBB6_852:                              ;   Parent Loop BB6_47 Depth=1
                                        ;     Parent Loop BB6_752 Depth=2
                                        ;       Parent Loop BB6_755 Depth=3
                                        ; =>      This Inner Loop Header: Depth=4
	v_add_co_u32 v33, vcc_lo, 0xfffffc20, v17
	v_add_co_ci_u32_e64 v34, null, -1, v18, vcc_lo
	v_sub_nc_u32_e32 v26, v26, v119
	flat_load_ubyte v33, v[33:34] slc
	v_add_co_u32 v34, vcc_lo, 0xfffffc40, v17
	v_add_co_ci_u32_e64 v35, null, -1, v18, vcc_lo
	v_add_co_u32 v84, vcc_lo, 0xfffffc60, v17
	v_add_co_ci_u32_e64 v85, null, -1, v18, vcc_lo
	flat_load_ubyte v34, v[34:35] slc
	flat_load_ubyte v35, v[84:85] slc
	v_add_co_u32 v84, vcc_lo, 0xfffffc80, v17
	v_add_co_ci_u32_e64 v85, null, -1, v18, vcc_lo
	flat_load_ubyte v84, v[84:85] slc
	v_add_co_u32 v85, vcc_lo, 0xfffffca0, v17
	v_add_co_ci_u32_e64 v86, null, -1, v18, vcc_lo
	flat_load_ubyte v85, v[85:86] slc
	v_add_co_u32 v86, vcc_lo, 0xfffffcc0, v17
	v_add_co_ci_u32_e64 v87, null, -1, v18, vcc_lo
	v_add_co_u32 v96, vcc_lo, 0xfffffce0, v17
	v_add_co_ci_u32_e64 v97, null, -1, v18, vcc_lo
	flat_load_ubyte v86, v[86:87] slc
	flat_load_ubyte v87, v[96:97] slc
	v_add_co_u32 v96, vcc_lo, 0xfffffd00, v17
	v_add_co_ci_u32_e64 v97, null, -1, v18, vcc_lo
	flat_load_ubyte v96, v[96:97] slc
	v_add_co_u32 v97, vcc_lo, 0xfffffd20, v17
	v_add_co_ci_u32_e64 v98, null, -1, v18, vcc_lo
	;; [unrolled: 3-line block ×7, first 2 shown]
	v_add_co_u32 v112, vcc_lo, 0xfffffde0, v17
	v_add_co_ci_u32_e64 v113, null, -1, v18, vcc_lo
	flat_load_ubyte v102, v[102:103] slc
	flat_load_ubyte v103, v[112:113] slc
	v_add_co_u32 v112, vcc_lo, 0xfffffe00, v17
	v_add_co_ci_u32_e64 v113, null, -1, v18, vcc_lo
	flat_load_ubyte v1, v[112:113] slc
	v_add_co_u32 v112, vcc_lo, 0xfffffe20, v17
	v_add_co_ci_u32_e64 v113, null, -1, v18, vcc_lo
	;; [unrolled: 3-line block ×16, first 2 shown]
	flat_load_ubyte v70, v[112:113] slc
	flat_load_ubyte v71, v[17:18] slc
	s_waitcnt vmcnt(31) lgkmcnt(31)
	flat_store_byte v[8:9], v33 glc slc
	s_waitcnt vmcnt(30) lgkmcnt(31)
	flat_store_byte v[8:9], v34 offset:32 glc slc
	s_waitcnt vmcnt(29) lgkmcnt(31)
	flat_store_byte v[8:9], v35 offset:64 glc slc
	;; [unrolled: 2-line block ×31, first 2 shown]
	flat_store_byte v[10:11], v33 glc slc
	flat_store_byte v[10:11], v34 offset:32 glc slc
	flat_store_byte v[10:11], v35 offset:64 glc slc
	flat_store_byte v[10:11], v84 offset:96 glc slc
	flat_store_byte v[10:11], v85 offset:128 glc slc
	flat_store_byte v[10:11], v86 offset:160 glc slc
	flat_store_byte v[10:11], v87 offset:192 glc slc
	flat_store_byte v[10:11], v96 offset:224 glc slc
	flat_store_byte v[10:11], v97 offset:256 glc slc
	flat_store_byte v[10:11], v98 offset:288 glc slc
	flat_store_byte v[10:11], v99 offset:320 glc slc
	flat_store_byte v[10:11], v100 offset:352 glc slc
	flat_store_byte v[10:11], v101 offset:384 glc slc
	flat_store_byte v[10:11], v102 offset:416 glc slc
	flat_store_byte v[10:11], v103 offset:448 glc slc
	flat_store_byte v[10:11], v1 offset:480 glc slc
	flat_store_byte v[10:11], v4 offset:512 glc slc
	flat_store_byte v[10:11], v5 offset:544 glc slc
	flat_store_byte v[10:11], v28 offset:576 glc slc
	flat_store_byte v[10:11], v29 offset:608 glc slc
	flat_store_byte v[10:11], v30 offset:640 glc slc
	flat_store_byte v[10:11], v31 offset:672 glc slc
	flat_store_byte v[10:11], v36 offset:704 glc slc
	flat_store_byte v[10:11], v37 offset:736 glc slc
	flat_store_byte v[10:11], v38 offset:768 glc slc
	flat_store_byte v[10:11], v39 offset:800 glc slc
	flat_store_byte v[10:11], v66 offset:832 glc slc
	flat_store_byte v[10:11], v67 offset:864 glc slc
	flat_store_byte v[10:11], v68 offset:896 glc slc
	flat_store_byte v[10:11], v69 offset:928 glc slc
	flat_store_byte v[10:11], v70 offset:960 glc slc
	flat_store_byte v[10:11], v71 offset:992 glc slc
	v_add_co_u32 v8, vcc_lo, v8, v47
	v_add_co_ci_u32_e64 v9, null, 0, v9, vcc_lo
	v_add_co_u32 v10, vcc_lo, v10, v47
	v_add_co_ci_u32_e64 v11, null, 0, v11, vcc_lo
	;; [unrolled: 2-line block ×3, first 2 shown]
	v_cmp_gt_i32_e32 vcc_lo, 1, v26
	s_or_b32 s17, vcc_lo, s17
	s_andn2_b32 exec_lo, exec_lo, s17
	s_cbranch_execnz .LBB6_852
; %bb.853:                              ;   in Loop: Header=BB6_755 Depth=3
	s_or_b32 exec_lo, exec_lo, s17
.LBB6_854:                              ;   in Loop: Header=BB6_755 Depth=3
	s_or_b32 exec_lo, exec_lo, s16
	v_lshlrev_b32_e32 v8, 10, v32
	v_cmp_ne_u32_e32 vcc_lo, v20, v8
	s_and_b32 exec_lo, exec_lo, vcc_lo
	s_cbranch_execz .LBB6_860
; %bb.855:                              ;   in Loop: Header=BB6_755 Depth=3
	v_add_nc_u32_e32 v1, v25, v27
	v_lshlrev_b32_e32 v4, 5, v26
	v_and_b32_e32 v1, 0xffffffe0, v1
	v_sub_nc_u32_e32 v1, v25, v1
	v_sub_nc_u32_e32 v1, v1, v4
	v_add_nc_u32_e32 v8, v8, v1
	v_sub_nc_u32_e32 v10, v20, v8
	v_cmp_lt_i32_e32 vcc_lo, 0, v10
	s_and_b32 exec_lo, exec_lo, vcc_lo
	s_cbranch_execz .LBB6_860
; %bb.856:                              ;   in Loop: Header=BB6_755 Depth=3
	s_trap 2
	ds_read_b64 v[17:18], v0
	ds_read_b128 v[32:35], v0
	v_add_nc_u32_e32 v1, v8, v19
	s_mov_b32 s23, 0
	v_ashrrev_i32_e32 v4, 31, v1
	s_waitcnt lgkmcnt(1)
	v_add_co_u32 v8, vcc_lo, v17, v1
	v_add_co_ci_u32_e64 v9, null, v18, v4, vcc_lo
	s_waitcnt lgkmcnt(0)
	v_add_co_u32 v11, vcc_lo, v32, v1
	v_add_co_ci_u32_e64 v17, null, v33, v4, vcc_lo
	v_add_co_u32 v18, vcc_lo, v34, v1
	v_add_co_ci_u32_e64 v19, null, v35, v4, vcc_lo
	s_inst_prefetch 0x1
	.p2align	6
.LBB6_857:                              ;   Parent Loop BB6_47 Depth=1
                                        ;     Parent Loop BB6_752 Depth=2
                                        ;       Parent Loop BB6_755 Depth=3
                                        ; =>      This Loop Header: Depth=4
                                        ;           Child Loop BB6_858 Depth 5
	flat_load_ubyte v20, v[8:9] slc
	s_mov_b64 s[18:19], 0
	s_mov_b32 s73, -1
	.p2align	6
.LBB6_858:                              ;   Parent Loop BB6_47 Depth=1
                                        ;     Parent Loop BB6_752 Depth=2
                                        ;       Parent Loop BB6_755 Depth=3
                                        ;         Parent Loop BB6_857 Depth=4
                                        ; =>        This Inner Loop Header: Depth=5
	s_cmp_eq_u32 s18, 1
	s_cselect_b32 vcc_lo, -1, 0
	s_cmp_eq_u32 s18, 0
	v_cndmask_b32_e32 v25, v11, v18, vcc_lo
	v_cndmask_b32_e32 v26, v17, v19, vcc_lo
	s_mov_b64 s[18:19], 1
	v_add_co_u32 v1, s16, v25, 32
	v_add_co_ci_u32_e64 v4, null, 0, v26, s16
	s_cselect_b32 s16, -1, 0
	v_cndmask_b32_e32 v18, v18, v1, vcc_lo
	v_cndmask_b32_e64 v11, v11, v1, s16
	v_cndmask_b32_e32 v19, v19, v4, vcc_lo
	v_cndmask_b32_e64 v17, v17, v4, s16
	s_and_b32 s17, exec_lo, s73
	s_mov_b32 s73, 0
	s_mov_b32 vcc_lo, s17
	s_waitcnt vmcnt(0) lgkmcnt(0)
	flat_store_byte v[25:26], v20 glc slc
	s_cbranch_vccnz .LBB6_858
; %bb.859:                              ;   in Loop: Header=BB6_857 Depth=4
	v_sub_nc_u32_e32 v10, v10, v40
	v_add_co_u32 v11, vcc_lo, v11, v57
	v_add_co_ci_u32_e64 v17, null, v17, v59, vcc_lo
	v_add_co_u32 v18, vcc_lo, v18, v57
	v_add_co_ci_u32_e64 v19, null, v19, v59, vcc_lo
	v_cmp_gt_i32_e32 vcc_lo, 1, v10
	v_add_co_u32 v8, s16, v63, v8
	v_add_co_ci_u32_e64 v9, null, v72, v9, s16
	s_or_b32 s23, vcc_lo, s23
	s_andn2_b32 exec_lo, exec_lo, s23
	s_cbranch_execnz .LBB6_857
.LBB6_860:                              ;   in Loop: Header=BB6_755 Depth=3
	s_inst_prefetch 0x2
	s_or_b32 exec_lo, exec_lo, s22
	s_mov_b32 s16, 0
.LBB6_861:                              ;   in Loop: Header=BB6_755 Depth=3
	s_and_b32 vcc_lo, exec_lo, s16
	s_cbranch_vccz .LBB6_890
; %bb.862:                              ;   in Loop: Header=BB6_755 Depth=3
	s_mov_b32 s16, -1
	s_and_saveexec_b32 s17, s14
	s_cbranch_execz .LBB6_864
; %bb.863:                              ;   in Loop: Header=BB6_755 Depth=3
	ds_read_b32 v1, v0 offset:720
	s_waitcnt lgkmcnt(0)
	v_and_b32_e32 v1, 15, v1
	v_cmp_eq_u32_e32 vcc_lo, 0, v1
	s_orn2_b32 s16, vcc_lo, exec_lo
.LBB6_864:                              ;   in Loop: Header=BB6_755 Depth=3
	s_or_b32 exec_lo, exec_lo, s17
	s_and_saveexec_b32 s17, s12
	s_cbranch_execz .LBB6_866
; %bb.865:                              ;   in Loop: Header=BB6_755 Depth=3
	ds_read_b32 v1, v0 offset:784
	s_waitcnt lgkmcnt(0)
	v_and_b32_e32 v1, 15, v1
	v_cmp_eq_u32_e32 vcc_lo, 0, v1
	s_and_b32 s18, s16, vcc_lo
	s_andn2_b32 s16, s16, exec_lo
	s_and_b32 s18, s18, exec_lo
	s_or_b32 s16, s16, s18
.LBB6_866:                              ;   in Loop: Header=BB6_755 Depth=3
	s_or_b32 exec_lo, exec_lo, s17
	s_xor_b32 s16, s16, -1
	v_mov_b32_e32 v10, 0
	v_cndmask_b32_e64 v1, 0, 1, s16
	v_mov_b32_e32 v8, v24
	v_mov_b32_e32 v9, v0
	;; [unrolled: 1-line block ×3, first 2 shown]
	s_mov_b32 s16, -1
	v_cmp_ne_u32_e32 vcc_lo, 0, v1
	s_cbranch_vccz .LBB6_868
; %bb.867:                              ;   in Loop: Header=BB6_755 Depth=3
	s_and_saveexec_b32 s17, s16
	s_cbranch_execnz .LBB6_881
	s_branch .LBB6_889
.LBB6_868:                              ;   in Loop: Header=BB6_755 Depth=3
	v_ashrrev_i32_e32 v1, 31, v24
	s_mov_b32 s17, exec_lo
	v_lshrrev_b32_e32 v1, 20, v1
	v_add_nc_u32_e32 v1, v24, v1
	v_ashrrev_i32_e32 v18, 12, v1
	v_sub_nc_u32_e32 v17, v18, v60
	v_cmpx_lt_i32_e32 0, v17
	s_cbranch_execz .LBB6_872
; %bb.869:                              ;   in Loop: Header=BB6_755 Depth=3
	v_mov_b32_e32 v8, v15
	v_mov_b32_e32 v10, v13
	;; [unrolled: 1-line block ×4, first 2 shown]
	s_mov_b32 s18, 0
.LBB6_870:                              ;   Parent Loop BB6_47 Depth=1
                                        ;     Parent Loop BB6_752 Depth=2
                                        ;       Parent Loop BB6_755 Depth=3
                                        ; =>      This Inner Loop Header: Depth=4
	v_add_co_u32 v19, vcc_lo, v73, v10
	v_add_co_ci_u32_e64 v20, null, v77, v11, vcc_lo
	v_sub_nc_u32_e32 v17, v17, v119
	v_add_co_u32 v25, vcc_lo, 0x800, v19
	v_add_co_ci_u32_e64 v26, null, 0, v20, vcc_lo
	s_clause 0x3
	global_load_dwordx4 v[32:35], v[19:20], off slc
	global_load_dwordx4 v[84:87], v[19:20], off offset:512 slc
	global_load_dwordx4 v[96:99], v[19:20], off offset:1024 slc
	;; [unrolled: 1-line block ×3, first 2 shown]
	s_clause 0x3
	global_load_dwordx4 v[112:115], v[25:26], off slc
	global_load_dwordx4 v[89:92], v[25:26], off offset:512 slc
	global_load_dwordx4 v[104:107], v[25:26], off offset:1024 slc
	;; [unrolled: 1-line block ×3, first 2 shown]
	v_add_co_u32 v19, vcc_lo, v73, v8
	v_add_co_ci_u32_e64 v20, null, v77, v9, vcc_lo
	v_add_co_u32 v10, vcc_lo, v10, v45
	v_add_co_ci_u32_e64 v11, null, 0, v11, vcc_lo
	;; [unrolled: 2-line block ×3, first 2 shown]
	v_cmp_gt_i32_e32 vcc_lo, 1, v17
	v_add_co_u32 v25, s16, 0x800, v19
	v_add_co_ci_u32_e64 v26, null, 0, v20, s16
	s_or_b32 s18, vcc_lo, s18
	s_waitcnt vmcnt(7)
	global_store_dwordx4 v[19:20], v[32:35], off glc slc
	s_waitcnt vmcnt(6)
	global_store_dwordx4 v[19:20], v[84:87], off offset:512 glc slc
	s_waitcnt vmcnt(5)
	global_store_dwordx4 v[19:20], v[96:99], off offset:1024 glc slc
	s_waitcnt vmcnt(4)
	global_store_dwordx4 v[19:20], v[100:103], off offset:1536 glc slc
	s_waitcnt vmcnt(3)
	global_store_dwordx4 v[25:26], v[112:115], off glc slc
	s_waitcnt vmcnt(2)
	global_store_dwordx4 v[25:26], v[89:92], off offset:512 glc slc
	s_waitcnt vmcnt(1)
	global_store_dwordx4 v[25:26], v[104:107], off offset:1024 glc slc
	;; [unrolled: 2-line block ×3, first 2 shown]
	s_andn2_b32 exec_lo, exec_lo, s18
	s_cbranch_execnz .LBB6_870
; %bb.871:                              ;   in Loop: Header=BB6_755 Depth=3
	s_or_b32 exec_lo, exec_lo, s18
	s_clause 0x1
	buffer_load_dword v114, off, s[0:3], s33 offset:220
	buffer_load_dword v115, off, s[0:3], s33 offset:224
.LBB6_872:                              ;   in Loop: Header=BB6_755 Depth=3
	s_or_b32 exec_lo, exec_lo, s17
	v_lshlrev_b32_e32 v11, 12, v18
	v_mov_b32_e32 v10, 0
	s_mov_b32 s16, 0
	s_mov_b32 s18, exec_lo
                                        ; implicit-def: $vgpr8
                                        ; implicit-def: $vgpr9
                                        ; implicit-def: $vgpr25
	v_cmpx_ne_u32_e64 v24, v11
	s_cbranch_execz .LBB6_880
; %bb.873:                              ;   in Loop: Header=BB6_755 Depth=3
	buffer_load_dword v4, off, s[0:3], s33 offset:188 ; 4-byte Folded Reload
	v_lshlrev_b32_e32 v1, 5, v17
	v_sub_nc_u32_e32 v5, v24, v11
	s_mov_b32 s19, exec_lo
	v_ashrrev_i32_e32 v8, 31, v5
	v_lshrrev_b32_e32 v8, 23, v8
	v_add_nc_u32_e32 v8, v5, v8
	v_and_b32_e32 v17, 0xfffffe00, v8
	v_ashrrev_i32_e32 v8, 9, v8
	v_sub_nc_u32_e32 v19, v5, v17
	v_cmp_lt_i32_e32 vcc_lo, 15, v19
	s_waitcnt vmcnt(0)
	v_sub_nc_u32_e32 v1, v4, v1
	v_ashrrev_i32_e32 v4, 31, v1
	v_lshrrev_b32_e32 v4, 27, v4
	v_add_nc_u32_e32 v4, v1, v4
	v_and_b32_e32 v9, 0xffffffe0, v4
	v_sub_nc_u32_e32 v18, v1, v9
	v_ashrrev_i32_e32 v1, 5, v4
	v_lshlrev_b32_e32 v4, 4, v18
	v_lshl_add_u32 v9, v1, 9, v4
	v_add_co_ci_u32_e64 v4, null, 0, v8, vcc_lo
	v_sub_nc_u32_e32 v8, v5, v9
	v_sub_nc_u32_e32 v20, v4, v1
	v_cmpx_lt_i32_e32 15, v8
	s_cbranch_execz .LBB6_877
; %bb.874:                              ;   in Loop: Header=BB6_755 Depth=3
	v_add_nc_u32_e32 v9, v9, v11
	s_mov_b32 s22, 0
	v_ashrrev_i32_e32 v10, 31, v9
	.p2align	6
.LBB6_875:                              ;   Parent Loop BB6_47 Depth=1
                                        ;     Parent Loop BB6_752 Depth=2
                                        ;       Parent Loop BB6_755 Depth=3
                                        ; =>      This Inner Loop Header: Depth=4
	v_add_co_u32 v25, s16, v13, v9
	v_add_co_ci_u32_e64 v26, null, v14, v10, s16
	v_sub_nc_u32_e32 v8, v8, v46
	v_sub_nc_u32_e32 v20, v20, v119
	global_load_dwordx4 v[32:35], v[25:26], off slc
	v_add_co_u32 v25, s16, v15, v9
	v_add_co_ci_u32_e64 v26, null, v16, v10, s16
	v_cmp_gt_i32_e64 s16, 16, v8
	v_add_co_u32 v9, s17, v9, v46
	v_add_co_ci_u32_e64 v10, null, 0, v10, s17
	s_or_b32 s22, s16, s22
	s_waitcnt vmcnt(0)
	global_store_dwordx4 v[25:26], v[32:35], off glc slc
	s_andn2_b32 exec_lo, exec_lo, s22
	s_cbranch_execnz .LBB6_875
; %bb.876:                              ;   in Loop: Header=BB6_755 Depth=3
	s_or_b32 exec_lo, exec_lo, s22
.LBB6_877:                              ;   in Loop: Header=BB6_755 Depth=3
	s_or_b32 exec_lo, exec_lo, s19
	v_and_b32_e32 v26, 15, v24
	v_mov_b32_e32 v10, 0
	s_mov_b32 s17, 0
	s_mov_b32 s19, exec_lo
                                        ; implicit-def: $vgpr9
                                        ; implicit-def: $vgpr25
	v_cndmask_b32_e32 v8, v19, v26, vcc_lo
	v_cmpx_ne_u32_e32 0, v8
	s_cbranch_execz .LBB6_879
; %bb.878:                              ;   in Loop: Header=BB6_755 Depth=3
	v_cmp_lt_i32_e64 s16, 0, v20
	v_sub_nc_u32_e32 v4, v19, v26
	s_mov_b32 s17, exec_lo
	v_cndmask_b32_e64 v1, 0, v119, s16
	v_cndmask_b32_e32 v4, 0, v4, vcc_lo
	v_sub_nc_u32_e32 v1, v1, v20
	v_add3_u32 v10, v17, v11, v4
	v_lshl_add_u32 v9, v1, 5, v18
	v_ashrrev_i32_e32 v1, 31, v9
	v_lshrrev_b32_e32 v1, 27, v1
	v_add_nc_u32_e32 v1, v9, v1
	v_ashrrev_i32_e32 v25, 5, v1
.LBB6_879:                              ;   in Loop: Header=BB6_755 Depth=3
	s_or_b32 exec_lo, exec_lo, s19
	s_and_b32 s16, s17, exec_lo
.LBB6_880:                              ;   in Loop: Header=BB6_755 Depth=3
	s_or_b32 exec_lo, exec_lo, s18
	s_and_saveexec_b32 s17, s16
	s_cbranch_execz .LBB6_889
.LBB6_881:                              ;   in Loop: Header=BB6_755 Depth=3
	v_ashrrev_i32_e32 v1, 31, v8
	s_mov_b32 s16, exec_lo
	v_lshrrev_b32_e32 v1, 22, v1
	v_add_nc_u32_e32 v1, v8, v1
	v_ashrrev_i32_e32 v17, 10, v1
	v_sub_nc_u32_e32 v11, v17, v25
	v_cmpx_lt_i32_e32 0, v11
	s_cbranch_execz .LBB6_885
; %bb.882:                              ;   in Loop: Header=BB6_755 Depth=3
	v_ashrrev_i32_e32 v1, 31, v9
	v_lshlrev_b32_e32 v4, 10, v25
	s_mov_b32 s18, 0
	v_lshrrev_b32_e32 v1, 27, v1
	v_add_nc_u32_e32 v1, v9, v1
	v_and_b32_e32 v1, 0xffffffe0, v1
	v_sub_nc_u32_e32 v1, v9, v1
	v_add3_u32 v18, v10, v1, v4
	v_ashrrev_i32_e32 v19, 31, v18
.LBB6_883:                              ;   Parent Loop BB6_47 Depth=1
                                        ;     Parent Loop BB6_752 Depth=2
                                        ;       Parent Loop BB6_755 Depth=3
                                        ; =>      This Inner Loop Header: Depth=4
	v_add_co_u32 v25, vcc_lo, v18, v13
	v_add_co_ci_u32_e64 v26, null, v19, v14, vcc_lo
	v_sub_nc_u32_e32 v11, v11, v119
	s_clause 0x1f
	flat_load_ubyte v1, v[25:26] slc
	flat_load_ubyte v4, v[25:26] offset:32 slc
	flat_load_ubyte v5, v[25:26] offset:64 slc
	;; [unrolled: 1-line block ×31, first 2 shown]
	v_add_co_u32 v25, vcc_lo, v18, v15
	v_add_co_ci_u32_e64 v26, null, v19, v16, vcc_lo
	v_add_co_u32 v13, vcc_lo, v13, v47
	v_add_co_ci_u32_e64 v14, null, 0, v14, vcc_lo
	;; [unrolled: 2-line block ×3, first 2 shown]
	v_cmp_gt_i32_e32 vcc_lo, 1, v11
	s_waitcnt vmcnt(31) lgkmcnt(31)
	flat_store_byte v[25:26], v1 glc slc
	s_waitcnt vmcnt(30) lgkmcnt(31)
	flat_store_byte v[25:26], v4 offset:32 glc slc
	s_waitcnt vmcnt(29) lgkmcnt(31)
	flat_store_byte v[25:26], v5 offset:64 glc slc
	s_waitcnt vmcnt(28) lgkmcnt(31)
	flat_store_byte v[25:26], v20 offset:96 glc slc
	s_waitcnt vmcnt(27) lgkmcnt(31)
	flat_store_byte v[25:26], v27 offset:128 glc slc
	s_waitcnt vmcnt(26) lgkmcnt(31)
	flat_store_byte v[25:26], v28 offset:160 glc slc
	s_waitcnt vmcnt(25) lgkmcnt(31)
	flat_store_byte v[25:26], v29 offset:192 glc slc
	s_waitcnt vmcnt(24) lgkmcnt(31)
	flat_store_byte v[25:26], v30 offset:224 glc slc
	s_waitcnt vmcnt(23) lgkmcnt(31)
	flat_store_byte v[25:26], v31 offset:256 glc slc
	s_waitcnt vmcnt(22) lgkmcnt(31)
	flat_store_byte v[25:26], v32 offset:288 glc slc
	s_waitcnt vmcnt(21) lgkmcnt(31)
	flat_store_byte v[25:26], v33 offset:320 glc slc
	s_waitcnt vmcnt(20) lgkmcnt(31)
	flat_store_byte v[25:26], v34 offset:352 glc slc
	s_waitcnt vmcnt(19) lgkmcnt(31)
	flat_store_byte v[25:26], v35 offset:384 glc slc
	s_waitcnt vmcnt(18) lgkmcnt(31)
	flat_store_byte v[25:26], v36 offset:416 glc slc
	s_waitcnt vmcnt(17) lgkmcnt(31)
	flat_store_byte v[25:26], v37 offset:448 glc slc
	s_waitcnt vmcnt(16) lgkmcnt(31)
	flat_store_byte v[25:26], v38 offset:480 glc slc
	s_waitcnt vmcnt(15) lgkmcnt(31)
	flat_store_byte v[25:26], v39 offset:512 glc slc
	s_waitcnt vmcnt(14) lgkmcnt(31)
	flat_store_byte v[25:26], v66 offset:544 glc slc
	s_waitcnt vmcnt(13) lgkmcnt(31)
	flat_store_byte v[25:26], v67 offset:576 glc slc
	s_waitcnt vmcnt(12) lgkmcnt(31)
	flat_store_byte v[25:26], v68 offset:608 glc slc
	s_waitcnt vmcnt(11) lgkmcnt(31)
	flat_store_byte v[25:26], v69 offset:640 glc slc
	s_waitcnt vmcnt(10) lgkmcnt(31)
	flat_store_byte v[25:26], v70 offset:672 glc slc
	s_waitcnt vmcnt(9) lgkmcnt(31)
	flat_store_byte v[25:26], v71 offset:704 glc slc
	s_waitcnt vmcnt(8) lgkmcnt(31)
	flat_store_byte v[25:26], v82 offset:736 glc slc
	s_waitcnt vmcnt(7) lgkmcnt(31)
	flat_store_byte v[25:26], v83 offset:768 glc slc
	s_waitcnt vmcnt(6) lgkmcnt(31)
	flat_store_byte v[25:26], v84 offset:800 glc slc
	s_waitcnt vmcnt(5) lgkmcnt(31)
	flat_store_byte v[25:26], v85 offset:832 glc slc
	s_waitcnt vmcnt(4) lgkmcnt(31)
	flat_store_byte v[25:26], v86 offset:864 glc slc
	s_waitcnt vmcnt(3) lgkmcnt(31)
	flat_store_byte v[25:26], v87 offset:896 glc slc
	s_waitcnt vmcnt(2) lgkmcnt(31)
	flat_store_byte v[25:26], v96 offset:928 glc slc
	s_waitcnt vmcnt(1) lgkmcnt(31)
	flat_store_byte v[25:26], v97 offset:960 glc slc
	s_waitcnt vmcnt(0) lgkmcnt(31)
	flat_store_byte v[25:26], v98 offset:992 glc slc
	s_or_b32 s18, vcc_lo, s18
	s_andn2_b32 exec_lo, exec_lo, s18
	s_cbranch_execnz .LBB6_883
; %bb.884:                              ;   in Loop: Header=BB6_755 Depth=3
	s_or_b32 exec_lo, exec_lo, s18
.LBB6_885:                              ;   in Loop: Header=BB6_755 Depth=3
	s_or_b32 exec_lo, exec_lo, s16
	v_lshlrev_b32_e32 v13, 10, v17
	v_cmp_ne_u32_e32 vcc_lo, v8, v13
	s_and_b32 exec_lo, exec_lo, vcc_lo
	s_cbranch_execz .LBB6_889
; %bb.886:                              ;   in Loop: Header=BB6_755 Depth=3
	v_ashrrev_i32_e32 v1, 31, v9
	v_lshlrev_b32_e32 v4, 5, v11
	v_lshrrev_b32_e32 v1, 27, v1
	v_add_nc_u32_e32 v1, v9, v1
	v_and_b32_e32 v1, 0xffffffe0, v1
	v_sub_nc_u32_e32 v1, v9, v1
	v_sub_nc_u32_e32 v1, v1, v4
	v_add_nc_u32_e32 v13, v13, v1
	v_sub_nc_u32_e32 v11, v8, v13
	v_cmp_lt_i32_e32 vcc_lo, 0, v11
	s_and_b32 exec_lo, exec_lo, vcc_lo
	s_cbranch_execz .LBB6_889
; %bb.887:                              ;   in Loop: Header=BB6_755 Depth=3
	s_trap 2
	ds_read_b64 v[8:9], v0
	v_add_nc_u32_e32 v10, v13, v10
	s_mov_b32 s18, 0
	v_ashrrev_i32_e32 v13, 31, v10
	.p2align	6
.LBB6_888:                              ;   Parent Loop BB6_47 Depth=1
                                        ;     Parent Loop BB6_752 Depth=2
                                        ;       Parent Loop BB6_755 Depth=3
                                        ; =>      This Inner Loop Header: Depth=4
	s_waitcnt lgkmcnt(0)
	v_add_co_u32 v14, vcc_lo, v8, v10
	v_add_co_ci_u32_e64 v15, null, v9, v13, vcc_lo
	v_sub_nc_u32_e32 v11, v11, v40
	v_add_co_u32 v10, s16, v10, v40
	flat_load_ubyte v1, v[14:15] slc
	v_add_co_ci_u32_e64 v13, null, 0, v13, s16
	v_cmp_gt_i32_e32 vcc_lo, 1, v11
	s_or_b32 s18, vcc_lo, s18
	s_waitcnt vmcnt(0) lgkmcnt(0)
	flat_store_byte v[14:15], v1 glc slc
	s_andn2_b32 exec_lo, exec_lo, s18
	s_cbranch_execnz .LBB6_888
.LBB6_889:                              ;   in Loop: Header=BB6_755 Depth=3
	s_or_b32 exec_lo, exec_lo, s17
.LBB6_890:                              ;   in Loop: Header=BB6_755 Depth=3
	v_cmp_lt_i32_e64 s16, 0, v24
	s_and_saveexec_b32 s17, s6
	s_cbranch_execz .LBB6_831
.LBB6_891:                              ;   in Loop: Header=BB6_755 Depth=3
	s_and_saveexec_b32 s18, s29
	s_xor_b32 s18, exec_lo, s18
	s_cbranch_execz .LBB6_906
; %bb.892:                              ;   in Loop: Header=BB6_755 Depth=3
	s_and_saveexec_b32 s19, s11
	s_cbranch_execz .LBB6_905
; %bb.893:                              ;   in Loop: Header=BB6_755 Depth=3
	s_mov_b32 s23, exec_lo
	s_mov_b32 s22, exec_lo
	v_mbcnt_lo_u32_b32 v1, s23, 0
	s_waitcnt vmcnt(0) lgkmcnt(0)
	s_waitcnt_vscnt null, 0x0
	buffer_gl1_inv
	buffer_gl0_inv
	v_cmpx_eq_u32_e32 0, v1
	s_cbranch_execz .LBB6_895
; %bb.894:                              ;   in Loop: Header=BB6_755 Depth=3
	s_bcnt1_i32_b32 s23, s23
	v_mov_b32_e32 v9, v2
	v_mov_b32_e32 v8, s23
	ds_add_u64 v0, v[8:9]
	s_trap 2
.LBB6_895:                              ;   in Loop: Header=BB6_755 Depth=3
	s_or_b32 exec_lo, exec_lo, s22
	s_trap 2
	ds_read_b64 v[8:9], v0
	s_waitcnt lgkmcnt(0)
	buffer_gl0_inv
	v_add_co_u32 v54, vcc_lo, v54, v119
	v_add_co_ci_u32_e64 v55, null, 0, v55, vcc_lo
	s_mov_b32 s22, exec_lo
	v_cmpx_lt_u64_e64 v[8:9], v[54:55]
	s_cbranch_execz .LBB6_904
; %bb.896:                              ;   in Loop: Header=BB6_755 Depth=3
	s_mov_b32 s23, 0
	s_mov_b32 s75, 0
                                        ; implicit-def: $sgpr73
                                        ; implicit-def: $sgpr74
	s_inst_prefetch 0x1
	s_branch .LBB6_898
	.p2align	6
.LBB6_897:                              ;   in Loop: Header=BB6_898 Depth=4
	s_or_b32 exec_lo, exec_lo, s77
	s_and_b32 s76, exec_lo, s78
	s_or_b32 s23, s76, s23
	s_andn2_b32 s73, s73, exec_lo
	s_and_b32 s76, s74, exec_lo
	s_or_b32 s73, s73, s76
	s_andn2_b32 exec_lo, exec_lo, s23
	s_cbranch_execz .LBB6_902
.LBB6_898:                              ;   Parent Loop BB6_47 Depth=1
                                        ;     Parent Loop BB6_752 Depth=2
                                        ;       Parent Loop BB6_755 Depth=3
                                        ; =>      This Inner Loop Header: Depth=4
	s_add_i32 s75, s75, 1
	s_cmpk_lg_i32 s75, 0x2710
	s_cselect_b32 s76, -1, 0
	s_and_b32 vcc_lo, exec_lo, s76
	s_cbranch_vccz .LBB6_900
; %bb.899:                              ;   in Loop: Header=BB6_898 Depth=4
	s_mov_b32 s78, -1
	s_or_b32 s74, s74, exec_lo
	s_and_saveexec_b32 s77, s76
	s_cbranch_execz .LBB6_897
	s_branch .LBB6_901
	.p2align	6
.LBB6_900:                              ;   in Loop: Header=BB6_898 Depth=4
	s_trap 2
	ds_read_b64 v[8:9], v0
	s_andn2_b32 s76, s76, exec_lo
	s_mov_b32 s75, 0
	s_waitcnt lgkmcnt(0)
	flat_load_dword v1, v[8:9] glc dlc
	s_waitcnt vmcnt(0) lgkmcnt(0)
	buffer_gl1_inv
	buffer_gl0_inv
	v_cmp_eq_u32_e32 vcc_lo, 0, v1
	s_and_b32 s77, vcc_lo, exec_lo
	s_or_b32 s76, s76, s77
	s_mov_b32 s78, -1
	s_or_b32 s74, s74, exec_lo
	s_and_saveexec_b32 s77, s76
	s_cbranch_execz .LBB6_897
.LBB6_901:                              ;   in Loop: Header=BB6_898 Depth=4
	s_sleep 1
	s_trap 2
	ds_read_b64 v[8:9], v0
	s_waitcnt lgkmcnt(0)
	buffer_gl0_inv
	s_andn2_b32 s74, s74, exec_lo
	v_cmp_ge_u64_e32 vcc_lo, v[8:9], v[54:55]
	s_orn2_b32 s78, vcc_lo, exec_lo
	s_branch .LBB6_897
.LBB6_902:                              ;   in Loop: Header=BB6_755 Depth=3
	s_inst_prefetch 0x2
	s_or_b32 exec_lo, exec_lo, s23
	s_and_saveexec_b32 s23, s73
	s_xor_b32 s23, exec_lo, s23
	s_cbranch_execz .LBB6_904
; %bb.903:                              ;   in Loop: Header=BB6_755 Depth=3
	ds_write_b32 v0, v41
	s_trap 2
.LBB6_904:                              ;   in Loop: Header=BB6_755 Depth=3
	s_or_b32 exec_lo, exec_lo, s22
	;;#ASMSTART
	s_wakeup
	;;#ASMEND
.LBB6_905:                              ;   in Loop: Header=BB6_755 Depth=3
	s_or_b32 exec_lo, exec_lo, s19
.LBB6_906:                              ;   in Loop: Header=BB6_755 Depth=3
	s_andn2_saveexec_b32 s18, s18
	s_cbranch_execz .LBB6_908
; %bb.907:                              ;   in Loop: Header=BB6_755 Depth=3
	s_waitcnt vmcnt(0) lgkmcnt(0)
	s_waitcnt_vscnt null, 0x0
	buffer_gl1_inv
	buffer_gl0_inv
	s_barrier
.LBB6_908:                              ;   in Loop: Header=BB6_755 Depth=3
	s_or_b32 exec_lo, exec_lo, s18
	s_or_b32 exec_lo, exec_lo, s17
                                        ; implicit-def: $vgpr8
	s_and_saveexec_b32 s17, s13
	s_xor_b32 s17, exec_lo, s17
	s_cbranch_execnz .LBB6_832
.LBB6_909:                              ;   in Loop: Header=BB6_755 Depth=3
	s_andn2_saveexec_b32 s16, s17
	s_cbranch_execz .LBB6_928
.LBB6_910:                              ;   in Loop: Header=BB6_755 Depth=3
	s_and_saveexec_b32 s17, s29
	s_xor_b32 s17, exec_lo, s17
	s_cbranch_execz .LBB6_925
; %bb.911:                              ;   in Loop: Header=BB6_755 Depth=3
	s_and_saveexec_b32 s18, s11
	s_cbranch_execz .LBB6_924
; %bb.912:                              ;   in Loop: Header=BB6_755 Depth=3
	s_mov_b32 s22, exec_lo
	s_mov_b32 s19, exec_lo
	v_mbcnt_lo_u32_b32 v1, s22, 0
	;;#ASMSTART
	s_waitcnt lgkmcnt(0) vmcnt(0)
	;;#ASMEND
	v_cmpx_eq_u32_e32 0, v1
	s_cbranch_execz .LBB6_914
; %bb.913:                              ;   in Loop: Header=BB6_755 Depth=3
	s_bcnt1_i32_b32 s22, s22
	v_mov_b32_e32 v9, v2
	v_mov_b32_e32 v8, s22
	s_waitcnt vmcnt(0) lgkmcnt(0)
	s_waitcnt_vscnt null, 0x0
	ds_add_u64 v0, v[8:9]
	s_trap 2
.LBB6_914:                              ;   in Loop: Header=BB6_755 Depth=3
	s_or_b32 exec_lo, exec_lo, s19
	s_trap 2
	ds_read_b64 v[8:9], v0
	s_waitcnt vmcnt(0) lgkmcnt(0)
	buffer_gl0_inv
	v_add_co_u32 v54, vcc_lo, v54, v119
	v_add_co_ci_u32_e64 v55, null, 0, v55, vcc_lo
	s_mov_b32 s19, exec_lo
	v_cmpx_lt_u64_e64 v[8:9], v[54:55]
	s_cbranch_execz .LBB6_923
; %bb.915:                              ;   in Loop: Header=BB6_755 Depth=3
	s_mov_b32 s22, 0
	s_mov_b32 s74, 0
                                        ; implicit-def: $sgpr23
                                        ; implicit-def: $sgpr73
	s_inst_prefetch 0x1
	s_branch .LBB6_917
	.p2align	6
.LBB6_916:                              ;   in Loop: Header=BB6_917 Depth=4
	s_or_b32 exec_lo, exec_lo, s76
	s_and_b32 s75, exec_lo, s77
	s_or_b32 s22, s75, s22
	s_andn2_b32 s23, s23, exec_lo
	s_and_b32 s75, s73, exec_lo
	s_or_b32 s23, s23, s75
	s_andn2_b32 exec_lo, exec_lo, s22
	s_cbranch_execz .LBB6_921
.LBB6_917:                              ;   Parent Loop BB6_47 Depth=1
                                        ;     Parent Loop BB6_752 Depth=2
                                        ;       Parent Loop BB6_755 Depth=3
                                        ; =>      This Inner Loop Header: Depth=4
	s_add_i32 s74, s74, 1
	s_cmpk_lg_i32 s74, 0x2710
	s_cselect_b32 s75, -1, 0
	s_and_b32 vcc_lo, exec_lo, s75
	s_cbranch_vccz .LBB6_919
; %bb.918:                              ;   in Loop: Header=BB6_917 Depth=4
	s_mov_b32 s77, -1
	s_or_b32 s73, s73, exec_lo
	s_and_saveexec_b32 s76, s75
	s_cbranch_execz .LBB6_916
	s_branch .LBB6_920
	.p2align	6
.LBB6_919:                              ;   in Loop: Header=BB6_917 Depth=4
	s_trap 2
	ds_read_b64 v[8:9], v0
	s_andn2_b32 s75, s75, exec_lo
	s_mov_b32 s74, 0
	s_waitcnt lgkmcnt(0)
	s_waitcnt_vscnt null, 0x0
	flat_load_dword v1, v[8:9] glc dlc
	s_waitcnt vmcnt(0) lgkmcnt(0)
	buffer_gl1_inv
	buffer_gl0_inv
	v_cmp_eq_u32_e32 vcc_lo, 0, v1
	s_and_b32 s76, vcc_lo, exec_lo
	s_or_b32 s75, s75, s76
	s_mov_b32 s77, -1
	s_or_b32 s73, s73, exec_lo
	s_and_saveexec_b32 s76, s75
	s_cbranch_execz .LBB6_916
.LBB6_920:                              ;   in Loop: Header=BB6_917 Depth=4
	s_sleep 1
	s_trap 2
	ds_read_b64 v[8:9], v0
	s_waitcnt lgkmcnt(0)
	buffer_gl0_inv
	s_andn2_b32 s73, s73, exec_lo
	v_cmp_ge_u64_e32 vcc_lo, v[8:9], v[54:55]
	s_orn2_b32 s77, vcc_lo, exec_lo
	s_branch .LBB6_916
.LBB6_921:                              ;   in Loop: Header=BB6_755 Depth=3
	s_inst_prefetch 0x2
	s_or_b32 exec_lo, exec_lo, s22
	s_and_saveexec_b32 s22, s23
	s_xor_b32 s22, exec_lo, s22
	s_cbranch_execz .LBB6_923
; %bb.922:                              ;   in Loop: Header=BB6_755 Depth=3
	ds_write_b32 v0, v41
	s_trap 2
.LBB6_923:                              ;   in Loop: Header=BB6_755 Depth=3
	s_or_b32 exec_lo, exec_lo, s19
	;;#ASMSTART
	s_wakeup
	;;#ASMEND
.LBB6_924:                              ;   in Loop: Header=BB6_755 Depth=3
	s_or_b32 exec_lo, exec_lo, s18
.LBB6_925:                              ;   in Loop: Header=BB6_755 Depth=3
	s_andn2_saveexec_b32 s17, s17
	s_cbranch_execz .LBB6_927
; %bb.926:                              ;   in Loop: Header=BB6_755 Depth=3
	;;#ASMSTART
	s_waitcnt lgkmcnt(0) vmcnt(0)
	;;#ASMEND
	s_barrier
.LBB6_927:                              ;   in Loop: Header=BB6_755 Depth=3
	s_or_b32 exec_lo, exec_lo, s17
	v_and_b32_e32 v8, 16, v116
.LBB6_928:                              ;   in Loop: Header=BB6_755 Depth=3
	s_or_b32 exec_lo, exec_lo, s16
	v_cmp_ne_u32_e32 vcc_lo, 0, v8
	s_xor_b32 s16, s7, -1
	s_and_b32 s17, vcc_lo, s16
	s_and_saveexec_b32 s16, s17
	s_cbranch_execz .LBB6_930
; %bb.929:                              ;   in Loop: Header=BB6_755 Depth=3
	s_waitcnt vmcnt(0) lgkmcnt(0)
	s_waitcnt_vscnt null, 0x0
	flat_store_dword v[52:53], v41
.LBB6_930:                              ;   in Loop: Header=BB6_755 Depth=3
	s_or_b32 exec_lo, exec_lo, s16
	v_and_b32_e32 v1, 48, v116
	s_mov_b32 s16, exec_lo
	v_cmpx_ne_u32_e32 0, v1
	s_cbranch_execz .LBB6_754
; %bb.931:                              ;   in Loop: Header=BB6_755 Depth=3
	v_add_co_u32 v80, vcc_lo, v80, 2
	v_add_co_ci_u32_e64 v81, null, 0, v81, vcc_lo
	s_waitcnt vmcnt(0) lgkmcnt(0)
	s_waitcnt_vscnt null, 0x0
	flat_store_dwordx2 v[48:49], v[80:81]
	s_branch .LBB6_754
.LBB6_932:                              ;   in Loop: Header=BB6_752 Depth=2
	s_or_b32 exec_lo, exec_lo, s62
.LBB6_933:                              ;   in Loop: Header=BB6_752 Depth=2
	s_or_b32 exec_lo, exec_lo, s61
	s_mov_b32 s17, exec_lo
	v_cmpx_gt_i32_e32 2, v10
	s_cbranch_execz .LBB6_1009
; %bb.934:                              ;   in Loop: Header=BB6_752 Depth=2
	v_cmp_eq_u32_e64 s19, 0, v10
	s_mov_b32 s18, 0
	s_branch .LBB6_936
.LBB6_935:                              ;   in Loop: Header=BB6_936 Depth=3
	s_or_b32 exec_lo, exec_lo, s16
	v_add_nc_u32_e32 v21, v12, v21
	s_mov_b32 s19, 0
	s_andn2_b32 exec_lo, exec_lo, s18
	s_cbranch_execz .LBB6_1008
.LBB6_936:                              ;   Parent Loop BB6_47 Depth=1
                                        ;     Parent Loop BB6_752 Depth=2
                                        ; =>    This Loop Header: Depth=3
                                        ;         Child Loop BB6_942 Depth 4
                                        ;         Child Loop BB6_970 Depth 4
	;; [unrolled: 1-line block ×3, first 2 shown]
	v_sub_nc_u32_e32 v1, v3, v21
	v_and_b32_e32 v4, 12, v116
	s_mov_b32 s22, exec_lo
	v_min_i32_e32 v12, v12, v1
	v_cmpx_ne_u32_e32 0, v4
	s_cbranch_execz .LBB6_962
; %bb.937:                              ;   in Loop: Header=BB6_936 Depth=3
	v_and_b32_e32 v17, 8, v116
	s_mov_b32 s23, exec_lo
	s_waitcnt vmcnt(0) lgkmcnt(1)
	v_add_co_u32 v10, vcc_lo, v64, v17
	v_add_co_ci_u32_e64 v11, null, 0, v65, vcc_lo
	v_add_co_u32 v8, vcc_lo, v80, 2
	v_add_co_ci_u32_e64 v9, null, 0, v81, vcc_lo
	v_cmpx_lt_u64_e64 v[10:11], v[8:9]
	s_cbranch_execz .LBB6_949
; %bb.938:                              ;   in Loop: Header=BB6_936 Depth=3
	v_and_b32_e32 v1, 64, v116
	s_mov_b32 s61, 0
	s_mov_b32 s73, 0
                                        ; implicit-def: $sgpr62
                                        ; implicit-def: $sgpr63
                                        ; implicit-def: $sgpr72
	v_cmp_eq_u32_e32 vcc_lo, 0, v1
	s_branch .LBB6_942
.LBB6_939:                              ;   in Loop: Header=BB6_942 Depth=4
	s_waitcnt vmcnt(0) lgkmcnt(0)
	v_add_co_u32 v13, s16, v64, v17
	v_add_co_ci_u32_e64 v14, null, 0, v65, s16
	s_or_b32 s76, s76, exec_lo
	v_cmp_ge_u64_e64 s16, v[13:14], v[8:9]
	s_orn2_b32 s75, s16, exec_lo
.LBB6_940:                              ;   in Loop: Header=BB6_942 Depth=4
	s_or_b32 exec_lo, exec_lo, s78
	s_andn2_b32 s16, s72, exec_lo
	s_and_b32 s72, s76, exec_lo
	s_andn2_b32 s63, s63, exec_lo
	s_and_b32 s75, s75, exec_lo
	s_or_b32 s72, s16, s72
	s_or_b32 s63, s63, s75
.LBB6_941:                              ;   in Loop: Header=BB6_942 Depth=4
	s_or_b32 exec_lo, exec_lo, s74
	s_and_b32 s16, exec_lo, s63
	s_or_b32 s61, s16, s61
	s_andn2_b32 s16, s62, exec_lo
	s_and_b32 s62, s72, exec_lo
	s_or_b32 s62, s16, s62
	s_andn2_b32 exec_lo, exec_lo, s61
	s_cbranch_execz .LBB6_946
.LBB6_942:                              ;   Parent Loop BB6_47 Depth=1
                                        ;     Parent Loop BB6_752 Depth=2
                                        ;       Parent Loop BB6_936 Depth=3
                                        ; =>      This Inner Loop Header: Depth=4
	s_sleep 1
	s_waitcnt vmcnt(0) lgkmcnt(0)
	flat_load_dwordx2 v[64:65], v[48:49] glc dlc
	s_or_b32 s72, s72, exec_lo
	s_or_b32 s63, s63, exec_lo
                                        ; implicit-def: $vgpr10
	s_and_saveexec_b32 s74, vcc_lo
	s_cbranch_execz .LBB6_941
; %bb.943:                              ;   in Loop: Header=BB6_942 Depth=4
	s_cmpk_lt_i32 s73, 0x270f
	s_mov_b32 s75, -1
	s_cselect_b32 s77, -1, 0
	s_cmpk_gt_i32 s73, 0x270e
	s_cbranch_scc0 .LBB6_945
; %bb.944:                              ;   in Loop: Header=BB6_942 Depth=4
	s_trap 2
	ds_read_b64 v[10:11], v0
	s_andn2_b32 s73, s77, exec_lo
	s_mov_b32 s76, 0
	s_waitcnt vmcnt(0) lgkmcnt(0)
	s_waitcnt_vscnt null, 0x0
	flat_load_dword v10, v[10:11] glc dlc
	s_waitcnt vmcnt(0) lgkmcnt(0)
	buffer_gl1_inv
	buffer_gl0_inv
	v_cmp_eq_u32_e64 s16, 0, v10
	s_and_b32 s16, s16, exec_lo
	s_or_b32 s77, s73, s16
	s_mov_b32 s73, 0
	s_and_saveexec_b32 s78, s77
	s_cbranch_execz .LBB6_940
	s_branch .LBB6_939
.LBB6_945:                              ;   in Loop: Header=BB6_942 Depth=4
	s_add_i32 s73, s73, 1
	s_mov_b32 s76, -1
                                        ; implicit-def: $vgpr10
	s_and_saveexec_b32 s78, s77
	s_cbranch_execz .LBB6_940
	s_branch .LBB6_939
.LBB6_946:                              ;   in Loop: Header=BB6_936 Depth=3
	s_or_b32 exec_lo, exec_lo, s61
	s_xor_b32 s16, s62, -1
	s_and_saveexec_b32 s61, s16
	s_xor_b32 s16, exec_lo, s61
	s_cbranch_execz .LBB6_948
; %bb.947:                              ;   in Loop: Header=BB6_936 Depth=3
	v_or_b32_e32 v116, 64, v116
	s_waitcnt vmcnt(0) lgkmcnt(0)
	s_waitcnt_vscnt null, 0x0
	ds_write_b32 v0, v10
	s_trap 2
.LBB6_948:                              ;   in Loop: Header=BB6_936 Depth=3
	s_or_b32 exec_lo, exec_lo, s16
.LBB6_949:                              ;   in Loop: Header=BB6_936 Depth=3
	s_or_b32 exec_lo, exec_lo, s23
	v_and_b32_e32 v1, 0x108, v116
	s_mov_b32 s16, exec_lo
	;;#ASMSTART
	s_wakeup
	;;#ASMEND
                                        ; implicit-def: $vgpr10_vgpr11
	v_cmpx_ne_u32_e32 0x108, v1
	s_xor_b32 s16, exec_lo, s16
; %bb.950:                              ;   in Loop: Header=BB6_936 Depth=3
	v_and_b32_e32 v10, 7, v80
	v_mov_b32_e32 v11, v2
                                        ; implicit-def: $vgpr80_vgpr81
; %bb.951:                              ;   in Loop: Header=BB6_936 Depth=3
	s_andn2_saveexec_b32 s16, s16
	s_cbranch_execz .LBB6_953
; %bb.952:                              ;   in Loop: Header=BB6_936 Depth=3
	v_and_b32_e32 v10, 7, v80
	v_ashrrev_i32_e32 v13, 31, v12
	v_mov_b32_e32 v11, v2
	v_mad_u64_u32 v[14:15], null, v10, 24, v[6:7]
	flat_store_dwordx2 v[14:15], v[12:13] offset:8
.LBB6_953:                              ;   in Loop: Header=BB6_936 Depth=3
	s_or_b32 exec_lo, exec_lo, s16
	v_and_b32_e32 v1, 0x100, v116
	s_mov_b32 s16, -1
	s_mov_b32 s23, exec_lo
                                        ; implicit-def: $vgpr13_vgpr14
	v_cmpx_ne_u32_e32 0, v1
	s_cbranch_execz .LBB6_957
; %bb.954:                              ;   in Loop: Header=BB6_936 Depth=3
	v_mad_u64_u32 v[15:16], null, v10, 24, v[6:7]
	s_mov_b32 s61, exec_lo
	v_mov_b32_e32 v13, v16
	v_mad_u64_u32 v[13:14], null, v11, 24, v[13:14]
	v_mov_b32_e32 v16, v13
                                        ; implicit-def: $vgpr13_vgpr14
	flat_load_dword v1, v[15:16]
	s_waitcnt vmcnt(0) lgkmcnt(0)
	v_cmp_ne_u32_e32 vcc_lo, 1, v1
	v_cmpx_eq_u32_e32 1, v1
	s_cbranch_execz .LBB6_956
; %bb.955:                              ;   in Loop: Header=BB6_936 Depth=3
	flat_load_dword v13, v[15:16] offset:4 glc dlc
	s_waitcnt vmcnt(0) lgkmcnt(0)
	v_ashrrev_i32_e32 v14, 31, v13
.LBB6_956:                              ;   in Loop: Header=BB6_936 Depth=3
	s_or_b32 exec_lo, exec_lo, s61
	s_orn2_b32 s16, vcc_lo, exec_lo
.LBB6_957:                              ;   in Loop: Header=BB6_936 Depth=3
	s_or_b32 exec_lo, exec_lo, s23
	s_and_saveexec_b32 s23, s16
; %bb.958:                              ;   in Loop: Header=BB6_936 Depth=3
	v_mul_lo_u32 v1, v11, v117
	v_mul_lo_u32 v4, v10, v118
	v_mad_u64_u32 v[13:14], null, v10, v117, 0
	v_add3_u32 v14, v14, v4, v1
; %bb.959:                              ;   in Loop: Header=BB6_936 Depth=3
	s_or_b32 exec_lo, exec_lo, s23
	v_cmp_eq_u32_e32 vcc_lo, 0, v17
	v_and_b32_e32 v4, 0x2000, v116
	s_mov_b32 s16, exec_lo
	v_cndmask_b32_e32 v1, 0xd0, v79, vcc_lo
	v_add_co_u32 v10, vcc_lo, v50, v13
	v_add_co_ci_u32_e64 v11, null, v51, v14, vcc_lo
	v_add_nc_u32_e32 v1, v0, v1
	ds_write_b64 v1, v[10:11] offset:584
	v_cmpx_ne_u32_e32 0, v4
	s_cbranch_execz .LBB6_961
; %bb.960:                              ;   in Loop: Header=BB6_936 Depth=3
	ds_read_b64 v[10:11], v0 offset:872
	s_waitcnt lgkmcnt(0)
	v_add_co_u32 v10, vcc_lo, v10, 1
	v_add_co_ci_u32_e64 v11, null, 0, v11, vcc_lo
	ds_write_b64 v0, v[10:11] offset:872
.LBB6_961:                              ;   in Loop: Header=BB6_936 Depth=3
	s_or_b32 exec_lo, exec_lo, s16
	v_mov_b32_e32 v81, v9
	v_mov_b32_e32 v80, v8
.LBB6_962:                              ;   in Loop: Header=BB6_936 Depth=3
	s_or_b32 exec_lo, exec_lo, s22
	s_xor_b32 s16, s19, -1
	s_and_b32 s16, exec_lo, s16
	s_or_b32 s18, s16, s18
	s_and_saveexec_b32 s16, s6
	s_cbranch_execz .LBB6_981
; %bb.963:                              ;   in Loop: Header=BB6_936 Depth=3
	s_and_saveexec_b32 s19, s29
	s_xor_b32 s19, exec_lo, s19
	s_cbranch_execz .LBB6_978
; %bb.964:                              ;   in Loop: Header=BB6_936 Depth=3
	s_and_saveexec_b32 s22, s11
	s_cbranch_execz .LBB6_977
; %bb.965:                              ;   in Loop: Header=BB6_936 Depth=3
	s_mov_b32 s61, exec_lo
	s_mov_b32 s23, exec_lo
	v_mbcnt_lo_u32_b32 v1, s61, 0
	s_waitcnt vmcnt(0) lgkmcnt(0)
	s_waitcnt_vscnt null, 0x0
	buffer_gl1_inv
	buffer_gl0_inv
	v_cmpx_eq_u32_e32 0, v1
	s_cbranch_execz .LBB6_967
; %bb.966:                              ;   in Loop: Header=BB6_936 Depth=3
	s_bcnt1_i32_b32 s61, s61
	v_mov_b32_e32 v9, v2
	v_mov_b32_e32 v8, s61
	ds_add_u64 v0, v[8:9]
	s_trap 2
.LBB6_967:                              ;   in Loop: Header=BB6_936 Depth=3
	s_or_b32 exec_lo, exec_lo, s23
	s_trap 2
	ds_read_b64 v[8:9], v0
	s_waitcnt lgkmcnt(0)
	buffer_gl0_inv
	v_add_co_u32 v54, vcc_lo, v54, v119
	v_add_co_ci_u32_e64 v55, null, 0, v55, vcc_lo
	s_mov_b32 s23, exec_lo
	v_cmpx_lt_u64_e64 v[8:9], v[54:55]
	s_cbranch_execz .LBB6_976
; %bb.968:                              ;   in Loop: Header=BB6_936 Depth=3
	s_mov_b32 s61, 0
	s_mov_b32 s72, 0
                                        ; implicit-def: $sgpr62
                                        ; implicit-def: $sgpr63
	s_inst_prefetch 0x1
	s_branch .LBB6_970
	.p2align	6
.LBB6_969:                              ;   in Loop: Header=BB6_970 Depth=4
	s_or_b32 exec_lo, exec_lo, s74
	s_and_b32 s73, exec_lo, s75
	s_or_b32 s61, s73, s61
	s_andn2_b32 s62, s62, exec_lo
	s_and_b32 s73, s63, exec_lo
	s_or_b32 s62, s62, s73
	s_andn2_b32 exec_lo, exec_lo, s61
	s_cbranch_execz .LBB6_974
.LBB6_970:                              ;   Parent Loop BB6_47 Depth=1
                                        ;     Parent Loop BB6_752 Depth=2
                                        ;       Parent Loop BB6_936 Depth=3
                                        ; =>      This Inner Loop Header: Depth=4
	s_add_i32 s72, s72, 1
	s_cmpk_lg_i32 s72, 0x2710
	s_cselect_b32 s73, -1, 0
	s_and_b32 vcc_lo, exec_lo, s73
	s_cbranch_vccz .LBB6_972
; %bb.971:                              ;   in Loop: Header=BB6_970 Depth=4
	s_mov_b32 s75, -1
	s_or_b32 s63, s63, exec_lo
	s_and_saveexec_b32 s74, s73
	s_cbranch_execz .LBB6_969
	s_branch .LBB6_973
	.p2align	6
.LBB6_972:                              ;   in Loop: Header=BB6_970 Depth=4
	s_trap 2
	ds_read_b64 v[8:9], v0
	s_andn2_b32 s73, s73, exec_lo
	s_mov_b32 s72, 0
	s_waitcnt lgkmcnt(0)
	flat_load_dword v1, v[8:9] glc dlc
	s_waitcnt vmcnt(0) lgkmcnt(0)
	buffer_gl1_inv
	buffer_gl0_inv
	v_cmp_eq_u32_e32 vcc_lo, 0, v1
	s_and_b32 s74, vcc_lo, exec_lo
	s_or_b32 s73, s73, s74
	s_mov_b32 s75, -1
	s_or_b32 s63, s63, exec_lo
	s_and_saveexec_b32 s74, s73
	s_cbranch_execz .LBB6_969
.LBB6_973:                              ;   in Loop: Header=BB6_970 Depth=4
	s_sleep 1
	s_trap 2
	ds_read_b64 v[8:9], v0
	s_waitcnt lgkmcnt(0)
	buffer_gl0_inv
	s_andn2_b32 s63, s63, exec_lo
	v_cmp_ge_u64_e32 vcc_lo, v[8:9], v[54:55]
	s_orn2_b32 s75, vcc_lo, exec_lo
	s_branch .LBB6_969
.LBB6_974:                              ;   in Loop: Header=BB6_936 Depth=3
	s_inst_prefetch 0x2
	s_or_b32 exec_lo, exec_lo, s61
	s_and_saveexec_b32 s61, s62
	s_xor_b32 s61, exec_lo, s61
	s_cbranch_execz .LBB6_976
; %bb.975:                              ;   in Loop: Header=BB6_936 Depth=3
	ds_write_b32 v0, v41
	s_trap 2
.LBB6_976:                              ;   in Loop: Header=BB6_936 Depth=3
	s_or_b32 exec_lo, exec_lo, s23
	;;#ASMSTART
	s_wakeup
	;;#ASMEND
.LBB6_977:                              ;   in Loop: Header=BB6_936 Depth=3
	s_or_b32 exec_lo, exec_lo, s22
.LBB6_978:                              ;   in Loop: Header=BB6_936 Depth=3
	s_andn2_saveexec_b32 s19, s19
	s_cbranch_execz .LBB6_980
; %bb.979:                              ;   in Loop: Header=BB6_936 Depth=3
	s_waitcnt vmcnt(0) lgkmcnt(0)
	s_waitcnt_vscnt null, 0x0
	buffer_gl1_inv
	buffer_gl0_inv
	s_barrier
.LBB6_980:                              ;   in Loop: Header=BB6_936 Depth=3
	s_or_b32 exec_lo, exec_lo, s19
.LBB6_981:                              ;   in Loop: Header=BB6_936 Depth=3
	s_or_b32 exec_lo, exec_lo, s16
                                        ; implicit-def: $vgpr8
	s_and_saveexec_b32 s16, s13
	s_xor_b32 s19, exec_lo, s16
	s_cbranch_execz .LBB6_985
; %bb.982:                              ;   in Loop: Header=BB6_936 Depth=3
	s_trap 2
	ds_read_b32 v1, v0
	v_cmp_lt_i32_e32 vcc_lo, 0, v12
	v_and_b32_e32 v8, 16, v116
	s_waitcnt lgkmcnt(0)
	v_readfirstlane_b32 s16, v1
	v_and_b32_e32 v1, 16, v116
	s_cmp_eq_u32 s16, 0
	v_cmp_ne_u32_e64 s16, 0, v1
	s_cselect_b32 s22, -1, 0
	s_and_b32 s22, vcc_lo, s22
	s_and_b32 s22, s16, s22
	s_and_saveexec_b32 s16, s22
	s_cbranch_execz .LBB6_984
; %bb.983:                              ;   in Loop: Header=BB6_936 Depth=3
	v_mov_b32_e32 v8, 1
	s_waitcnt vmcnt(0)
	s_waitcnt_vscnt null, 0x0
	buffer_gl1_inv
	buffer_gl0_inv
.LBB6_984:                              ;   in Loop: Header=BB6_936 Depth=3
	s_or_b32 exec_lo, exec_lo, s16
	s_andn2_saveexec_b32 s16, s19
	s_cbranch_execz .LBB6_1004
	s_branch .LBB6_986
.LBB6_985:                              ;   in Loop: Header=BB6_936 Depth=3
	s_andn2_saveexec_b32 s16, s19
	s_cbranch_execz .LBB6_1004
.LBB6_986:                              ;   in Loop: Header=BB6_936 Depth=3
	s_and_saveexec_b32 s19, s29
	s_xor_b32 s19, exec_lo, s19
	s_cbranch_execz .LBB6_1001
; %bb.987:                              ;   in Loop: Header=BB6_936 Depth=3
	s_and_saveexec_b32 s22, s11
	s_cbranch_execz .LBB6_1000
; %bb.988:                              ;   in Loop: Header=BB6_936 Depth=3
	s_mov_b32 s61, exec_lo
	s_mov_b32 s23, exec_lo
	v_mbcnt_lo_u32_b32 v1, s61, 0
	;;#ASMSTART
	s_waitcnt lgkmcnt(0) vmcnt(0)
	;;#ASMEND
	v_cmpx_eq_u32_e32 0, v1
	s_cbranch_execz .LBB6_990
; %bb.989:                              ;   in Loop: Header=BB6_936 Depth=3
	s_bcnt1_i32_b32 s61, s61
	v_mov_b32_e32 v9, v2
	v_mov_b32_e32 v8, s61
	s_waitcnt vmcnt(0) lgkmcnt(0)
	s_waitcnt_vscnt null, 0x0
	ds_add_u64 v0, v[8:9]
	s_trap 2
.LBB6_990:                              ;   in Loop: Header=BB6_936 Depth=3
	s_or_b32 exec_lo, exec_lo, s23
	s_trap 2
	ds_read_b64 v[8:9], v0
	s_waitcnt vmcnt(0) lgkmcnt(0)
	buffer_gl0_inv
	v_add_co_u32 v54, vcc_lo, v54, v119
	v_add_co_ci_u32_e64 v55, null, 0, v55, vcc_lo
	s_mov_b32 s23, exec_lo
	v_cmpx_lt_u64_e64 v[8:9], v[54:55]
	s_cbranch_execz .LBB6_999
; %bb.991:                              ;   in Loop: Header=BB6_936 Depth=3
	s_mov_b32 s61, 0
	s_mov_b32 s72, 0
                                        ; implicit-def: $sgpr62
                                        ; implicit-def: $sgpr63
	s_inst_prefetch 0x1
	s_branch .LBB6_993
	.p2align	6
.LBB6_992:                              ;   in Loop: Header=BB6_993 Depth=4
	s_or_b32 exec_lo, exec_lo, s74
	s_and_b32 s73, exec_lo, s75
	s_or_b32 s61, s73, s61
	s_andn2_b32 s62, s62, exec_lo
	s_and_b32 s73, s63, exec_lo
	s_or_b32 s62, s62, s73
	s_andn2_b32 exec_lo, exec_lo, s61
	s_cbranch_execz .LBB6_997
.LBB6_993:                              ;   Parent Loop BB6_47 Depth=1
                                        ;     Parent Loop BB6_752 Depth=2
                                        ;       Parent Loop BB6_936 Depth=3
                                        ; =>      This Inner Loop Header: Depth=4
	s_add_i32 s72, s72, 1
	s_cmpk_lg_i32 s72, 0x2710
	s_cselect_b32 s73, -1, 0
	s_and_b32 vcc_lo, exec_lo, s73
	s_cbranch_vccz .LBB6_995
; %bb.994:                              ;   in Loop: Header=BB6_993 Depth=4
	s_mov_b32 s75, -1
	s_or_b32 s63, s63, exec_lo
	s_and_saveexec_b32 s74, s73
	s_cbranch_execz .LBB6_992
	s_branch .LBB6_996
	.p2align	6
.LBB6_995:                              ;   in Loop: Header=BB6_993 Depth=4
	s_trap 2
	ds_read_b64 v[8:9], v0
	s_andn2_b32 s73, s73, exec_lo
	s_mov_b32 s72, 0
	s_waitcnt lgkmcnt(0)
	s_waitcnt_vscnt null, 0x0
	flat_load_dword v1, v[8:9] glc dlc
	s_waitcnt vmcnt(0) lgkmcnt(0)
	buffer_gl1_inv
	buffer_gl0_inv
	v_cmp_eq_u32_e32 vcc_lo, 0, v1
	s_and_b32 s74, vcc_lo, exec_lo
	s_or_b32 s73, s73, s74
	s_mov_b32 s75, -1
	s_or_b32 s63, s63, exec_lo
	s_and_saveexec_b32 s74, s73
	s_cbranch_execz .LBB6_992
.LBB6_996:                              ;   in Loop: Header=BB6_993 Depth=4
	s_sleep 1
	s_trap 2
	ds_read_b64 v[8:9], v0
	s_waitcnt lgkmcnt(0)
	buffer_gl0_inv
	s_andn2_b32 s63, s63, exec_lo
	v_cmp_ge_u64_e32 vcc_lo, v[8:9], v[54:55]
	s_orn2_b32 s75, vcc_lo, exec_lo
	s_branch .LBB6_992
.LBB6_997:                              ;   in Loop: Header=BB6_936 Depth=3
	s_inst_prefetch 0x2
	s_or_b32 exec_lo, exec_lo, s61
	s_and_saveexec_b32 s61, s62
	s_xor_b32 s61, exec_lo, s61
	s_cbranch_execz .LBB6_999
; %bb.998:                              ;   in Loop: Header=BB6_936 Depth=3
	ds_write_b32 v0, v41
	s_trap 2
.LBB6_999:                              ;   in Loop: Header=BB6_936 Depth=3
	s_or_b32 exec_lo, exec_lo, s23
	;;#ASMSTART
	s_wakeup
	;;#ASMEND
.LBB6_1000:                             ;   in Loop: Header=BB6_936 Depth=3
	s_or_b32 exec_lo, exec_lo, s22
.LBB6_1001:                             ;   in Loop: Header=BB6_936 Depth=3
	s_andn2_saveexec_b32 s19, s19
	s_cbranch_execz .LBB6_1003
; %bb.1002:                             ;   in Loop: Header=BB6_936 Depth=3
	;;#ASMSTART
	s_waitcnt lgkmcnt(0) vmcnt(0)
	;;#ASMEND
	s_barrier
.LBB6_1003:                             ;   in Loop: Header=BB6_936 Depth=3
	s_or_b32 exec_lo, exec_lo, s19
	v_and_b32_e32 v8, 16, v116
.LBB6_1004:                             ;   in Loop: Header=BB6_936 Depth=3
	s_or_b32 exec_lo, exec_lo, s16
	v_cmp_ne_u32_e32 vcc_lo, 0, v8
	s_xor_b32 s16, s7, -1
	s_and_b32 s19, vcc_lo, s16
	s_and_saveexec_b32 s16, s19
	s_cbranch_execz .LBB6_1006
; %bb.1005:                             ;   in Loop: Header=BB6_936 Depth=3
	s_waitcnt vmcnt(0) lgkmcnt(0)
	s_waitcnt_vscnt null, 0x0
	flat_store_dword v[52:53], v41
.LBB6_1006:                             ;   in Loop: Header=BB6_936 Depth=3
	s_or_b32 exec_lo, exec_lo, s16
	v_and_b32_e32 v1, 48, v116
	s_mov_b32 s16, exec_lo
	v_cmpx_ne_u32_e32 0, v1
	s_cbranch_execz .LBB6_935
; %bb.1007:                             ;   in Loop: Header=BB6_936 Depth=3
	v_add_co_u32 v80, vcc_lo, v80, 2
	v_add_co_ci_u32_e64 v81, null, 0, v81, vcc_lo
	s_waitcnt vmcnt(0) lgkmcnt(0)
	s_waitcnt_vscnt null, 0x0
	flat_store_dwordx2 v[48:49], v[80:81]
	s_branch .LBB6_935
.LBB6_1008:                             ;   in Loop: Header=BB6_752 Depth=2
	s_or_b32 exec_lo, exec_lo, s18
.LBB6_1009:                             ;   in Loop: Header=BB6_752 Depth=2
	s_or_b32 exec_lo, exec_lo, s17
	s_add_i32 s16, s21, 1
	s_cmp_eq_u32 s21, s56
	s_cbranch_scc1 .LBB6_1011
; %bb.1010:                             ;   in Loop: Header=BB6_752 Depth=2
	s_mov_b32 s21, s16
	s_branch .LBB6_752
.LBB6_1011:                             ;   in Loop: Header=BB6_47 Depth=1
	s_clause 0x3
	buffer_load_dword v4, off, s[0:3], s33 offset:200
	buffer_load_dword v5, off, s[0:3], s33 offset:204
	;; [unrolled: 1-line block ×4, first 2 shown]
	v_mov_b32_e32 v17, 0
	s_waitcnt vmcnt(3)
	v_mul_lo_u32 v3, v4, s59
	s_waitcnt vmcnt(2)
	v_mul_lo_u32 v1, v5, s58
	v_mad_u64_u32 v[8:9], null, v4, s58, 0
	s_waitcnt vmcnt(1)
	v_sub_co_u32 v10, vcc_lo, v10, v8
	v_add3_u32 v9, v9, v3, v1
	s_waitcnt vmcnt(0)
	v_sub_co_ci_u32_e64 v11, null, v11, v9, vcc_lo
	v_cmp_lt_i64_e32 vcc_lo, v[4:5], v[10:11]
	v_cndmask_b32_e32 v1, v10, v4, vcc_lo
	v_mov_b32_e32 v10, 0
	v_max_i32_e32 v3, 0, v1
	v_cmp_lt_i32_e32 vcc_lo, 0, v1
	v_add_nc_u32_e32 v4, 31, v3
	s_and_b32 s16, s57, vcc_lo
	v_lshrrev_b32_e32 v4, 1, v4
	v_and_b32_e32 v4, 0x3ffffff0, v4
	v_max_i32_e32 v16, s45, v4
	s_mov_b32 s18, exec_lo
	s_clause 0x1
	buffer_load_dword v4, off, s[0:3], s33 offset:228
	buffer_load_dword v5, off, s[0:3], s33 offset:232
	s_and_b32 s16, s18, s16
	s_mov_b32 exec_lo, s16
	s_cbranch_execz .LBB6_1151
; %bb.1012:                             ;   in Loop: Header=BB6_47 Depth=1
	v_add_co_u32 v18, vcc_lo, v8, v88
	v_add_co_ci_u32_e64 v19, null, v9, v58, vcc_lo
	v_mov_b32_e32 v17, 0
	s_mov_b32 s22, 1
	s_mov_b32 s21, -1
	s_mov_b32 s19, 0
	s_branch .LBB6_1014
.LBB6_1013:                             ;   in Loop: Header=BB6_1014 Depth=2
	s_or_b32 exec_lo, exec_lo, s16
	v_add_nc_u32_e32 v17, v16, v17
	s_xor_b32 s16, s21, -1
	v_mov_b32_e32 v10, s22
	s_mov_b32 s21, 0
	s_mov_b32 s22, 2
	v_cmp_ge_i32_e32 vcc_lo, v17, v3
	s_or_b32 s16, s16, vcc_lo
	s_and_b32 s16, exec_lo, s16
	s_or_b32 s19, s16, s19
	s_andn2_b32 exec_lo, exec_lo, s19
	s_cbranch_execz .LBB6_1150
.LBB6_1014:                             ;   Parent Loop BB6_47 Depth=1
                                        ; =>  This Loop Header: Depth=2
                                        ;       Child Loop BB6_1022 Depth 3
                                        ;       Child Loop BB6_1046 Depth 3
                                        ;       Child Loop BB6_1065 Depth 3
                                        ;       Child Loop BB6_1091 Depth 3
                                        ;       Child Loop BB6_1096 Depth 3
                                        ;       Child Loop BB6_1104 Depth 3
                                        ;       Child Loop BB6_1109 Depth 3
                                        ;       Child Loop BB6_1118 Depth 3
                                        ;       Child Loop BB6_1137 Depth 3
	s_and_saveexec_b32 s17, s4
	s_cbranch_execz .LBB6_1016
; %bb.1015:                             ;   in Loop: Header=BB6_1014 Depth=2
	s_trap 2
	ds_read_b128 v[8:11], v0
	v_ashrrev_i32_e32 v1, 31, v17
	s_waitcnt vmcnt(1) lgkmcnt(0)
	v_add_co_u32 v4, vcc_lo, v10, v18
	s_waitcnt vmcnt(0)
	v_add_co_ci_u32_e64 v5, null, v11, v19, vcc_lo
	v_add_co_u32 v8, vcc_lo, v8, v18
	v_add_co_ci_u32_e64 v9, null, v9, v19, vcc_lo
	v_add_co_u32 v4, vcc_lo, v4, v17
	v_add_co_ci_u32_e64 v5, null, v5, v1, vcc_lo
	v_cmp_ne_u64_e32 vcc_lo, 0, v[10:11]
	v_add_co_u32 v8, s16, v8, v17
	v_add_co_ci_u32_e64 v9, null, v9, v1, s16
	v_cndmask_b32_e32 v11, 0, v5, vcc_lo
	v_cndmask_b32_e32 v10, 0, v4, vcc_lo
	s_clause 0x1
	buffer_load_dword v4, off, s[0:3], s33 offset:228
	buffer_load_dword v5, off, s[0:3], s33 offset:232
	ds_write_b64 v0, v[8:9]
	ds_write_b64 v0, v[10:11]
.LBB6_1016:                             ;   in Loop: Header=BB6_1014 Depth=2
	s_or_b32 exec_lo, exec_lo, s17
	v_and_b32_e32 v1, 4, v116
	s_mov_b32 s17, exec_lo
	v_cmpx_ne_u32_e32 0, v1
	s_cbranch_execz .LBB6_1038
; %bb.1017:                             ;   in Loop: Header=BB6_1014 Depth=2
	v_add_co_u32 v8, vcc_lo, v80, 2
	v_add_co_ci_u32_e64 v9, null, 0, v81, vcc_lo
	s_mov_b32 s23, exec_lo
	s_waitcnt vmcnt(0) lgkmcnt(1)
	v_cmpx_lt_u64_e64 v[64:65], v[8:9]
	s_cbranch_execz .LBB6_1029
; %bb.1018:                             ;   in Loop: Header=BB6_1014 Depth=2
	v_and_b32_e32 v1, 64, v116
	s_mov_b32 s61, 0
	s_mov_b32 s73, 0
                                        ; implicit-def: $sgpr62
                                        ; implicit-def: $sgpr63
                                        ; implicit-def: $sgpr72
	v_cmp_eq_u32_e32 vcc_lo, 0, v1
	s_branch .LBB6_1022
.LBB6_1019:                             ;   in Loop: Header=BB6_1022 Depth=3
	s_waitcnt vmcnt(0) lgkmcnt(0)
	v_cmp_ge_u64_e64 s16, v[64:65], v[8:9]
	s_or_b32 s76, s76, exec_lo
	s_orn2_b32 s75, s16, exec_lo
.LBB6_1020:                             ;   in Loop: Header=BB6_1022 Depth=3
	s_or_b32 exec_lo, exec_lo, s78
	s_andn2_b32 s16, s72, exec_lo
	s_and_b32 s72, s76, exec_lo
	s_andn2_b32 s63, s63, exec_lo
	s_and_b32 s75, s75, exec_lo
	s_or_b32 s72, s16, s72
	s_or_b32 s63, s63, s75
.LBB6_1021:                             ;   in Loop: Header=BB6_1022 Depth=3
	s_or_b32 exec_lo, exec_lo, s74
	s_and_b32 s16, exec_lo, s63
	s_or_b32 s61, s16, s61
	s_andn2_b32 s16, s62, exec_lo
	s_and_b32 s62, s72, exec_lo
	s_or_b32 s62, s16, s62
	s_andn2_b32 exec_lo, exec_lo, s61
	s_cbranch_execz .LBB6_1026
.LBB6_1022:                             ;   Parent Loop BB6_47 Depth=1
                                        ;     Parent Loop BB6_1014 Depth=2
                                        ; =>    This Inner Loop Header: Depth=3
	s_sleep 1
	s_waitcnt vmcnt(0) lgkmcnt(0)
	flat_load_dwordx2 v[64:65], v[48:49] glc dlc
	s_or_b32 s72, s72, exec_lo
	s_or_b32 s63, s63, exec_lo
                                        ; implicit-def: $vgpr10
	s_and_saveexec_b32 s74, vcc_lo
	s_cbranch_execz .LBB6_1021
; %bb.1023:                             ;   in Loop: Header=BB6_1022 Depth=3
	s_cmpk_lt_i32 s73, 0x270f
	s_mov_b32 s75, -1
	s_cselect_b32 s77, -1, 0
	s_cmpk_gt_i32 s73, 0x270e
	s_cbranch_scc0 .LBB6_1025
; %bb.1024:                             ;   in Loop: Header=BB6_1022 Depth=3
	s_trap 2
	ds_read_b64 v[10:11], v0
	s_andn2_b32 s73, s77, exec_lo
	s_mov_b32 s76, 0
	s_waitcnt vmcnt(0) lgkmcnt(0)
	s_waitcnt_vscnt null, 0x0
	flat_load_dword v10, v[10:11] glc dlc
	s_waitcnt vmcnt(0) lgkmcnt(0)
	buffer_gl1_inv
	buffer_gl0_inv
	v_cmp_eq_u32_e64 s16, 0, v10
	s_and_b32 s16, s16, exec_lo
	s_or_b32 s77, s73, s16
	s_mov_b32 s73, 0
	s_and_saveexec_b32 s78, s77
	s_cbranch_execz .LBB6_1020
	s_branch .LBB6_1019
.LBB6_1025:                             ;   in Loop: Header=BB6_1022 Depth=3
	s_add_i32 s73, s73, 1
	s_mov_b32 s76, -1
                                        ; implicit-def: $vgpr10
	s_and_saveexec_b32 s78, s77
	s_cbranch_execz .LBB6_1020
	s_branch .LBB6_1019
.LBB6_1026:                             ;   in Loop: Header=BB6_1014 Depth=2
	s_or_b32 exec_lo, exec_lo, s61
	s_xor_b32 s16, s62, -1
	s_and_saveexec_b32 s61, s16
	s_xor_b32 s16, exec_lo, s61
	s_cbranch_execz .LBB6_1028
; %bb.1027:                             ;   in Loop: Header=BB6_1014 Depth=2
	v_or_b32_e32 v116, 64, v116
	s_waitcnt vmcnt(0) lgkmcnt(0)
	s_waitcnt_vscnt null, 0x0
	ds_write_b32 v0, v10
	s_trap 2
.LBB6_1028:                             ;   in Loop: Header=BB6_1014 Depth=2
	s_or_b32 exec_lo, exec_lo, s16
.LBB6_1029:                             ;   in Loop: Header=BB6_1014 Depth=2
	s_or_b32 exec_lo, exec_lo, s23
	v_and_b32_e32 v1, 0x100, v116
	v_and_b32_e32 v14, 7, v80
	s_mov_b32 s16, -1
	s_mov_b32 s23, exec_lo
	;;#ASMSTART
	s_wakeup
	;;#ASMEND
                                        ; implicit-def: $vgpr10_vgpr11
	v_cmpx_ne_u32_e32 0, v1
	s_cbranch_execz .LBB6_1033
; %bb.1030:                             ;   in Loop: Header=BB6_1014 Depth=2
	v_mad_u64_u32 v[12:13], null, v14, 24, v[6:7]
	s_mov_b32 s61, exec_lo
                                        ; implicit-def: $vgpr10_vgpr11
	flat_load_dword v1, v[12:13]
	s_waitcnt vmcnt(0) lgkmcnt(0)
	v_cmp_ne_u32_e32 vcc_lo, 1, v1
	v_cmpx_eq_u32_e32 1, v1
	s_cbranch_execz .LBB6_1032
; %bb.1031:                             ;   in Loop: Header=BB6_1014 Depth=2
	flat_load_dword v10, v[12:13] offset:4 glc dlc
	s_waitcnt vmcnt(0) lgkmcnt(0)
	v_ashrrev_i32_e32 v11, 31, v10
.LBB6_1032:                             ;   in Loop: Header=BB6_1014 Depth=2
	s_or_b32 exec_lo, exec_lo, s61
	s_orn2_b32 s16, vcc_lo, exec_lo
.LBB6_1033:                             ;   in Loop: Header=BB6_1014 Depth=2
	s_or_b32 exec_lo, exec_lo, s23
	s_and_saveexec_b32 s23, s16
; %bb.1034:                             ;   in Loop: Header=BB6_1014 Depth=2
	v_mad_i64_i32 v[10:11], null, v14, v117, 0
; %bb.1035:                             ;   in Loop: Header=BB6_1014 Depth=2
	s_or_b32 exec_lo, exec_lo, s23
	v_add_co_u32 v10, vcc_lo, v50, v10
	v_and_b32_e32 v1, 0x2000, v116
	v_add_co_ci_u32_e64 v11, null, v51, v11, vcc_lo
	s_mov_b32 s16, exec_lo
	ds_write_b64 v0, v[10:11] offset:720
	v_cmpx_ne_u32_e32 0, v1
	s_cbranch_execz .LBB6_1037
; %bb.1036:                             ;   in Loop: Header=BB6_1014 Depth=2
	ds_read_b64 v[10:11], v0 offset:872
	s_waitcnt lgkmcnt(0)
	v_add_co_u32 v10, vcc_lo, v10, 1
	v_add_co_ci_u32_e64 v11, null, 0, v11, vcc_lo
	ds_write_b64 v0, v[10:11] offset:872
.LBB6_1037:                             ;   in Loop: Header=BB6_1014 Depth=2
	s_or_b32 exec_lo, exec_lo, s16
	v_mov_b32_e32 v81, v9
	v_mov_b32_e32 v80, v8
.LBB6_1038:                             ;   in Loop: Header=BB6_1014 Depth=2
	s_or_b32 exec_lo, exec_lo, s17
	s_and_saveexec_b32 s16, s6
	s_cbranch_execz .LBB6_1057
; %bb.1039:                             ;   in Loop: Header=BB6_1014 Depth=2
	s_and_saveexec_b32 s17, s29
	s_xor_b32 s17, exec_lo, s17
	s_cbranch_execz .LBB6_1054
; %bb.1040:                             ;   in Loop: Header=BB6_1014 Depth=2
	s_and_saveexec_b32 s23, s11
	s_cbranch_execz .LBB6_1053
; %bb.1041:                             ;   in Loop: Header=BB6_1014 Depth=2
	s_mov_b32 s62, exec_lo
	s_mov_b32 s61, exec_lo
	v_mbcnt_lo_u32_b32 v1, s62, 0
	s_waitcnt vmcnt(0) lgkmcnt(0)
	s_waitcnt_vscnt null, 0x0
	buffer_gl1_inv
	buffer_gl0_inv
	v_cmpx_eq_u32_e32 0, v1
	s_cbranch_execz .LBB6_1043
; %bb.1042:                             ;   in Loop: Header=BB6_1014 Depth=2
	s_bcnt1_i32_b32 s62, s62
	v_mov_b32_e32 v9, v2
	v_mov_b32_e32 v8, s62
	ds_add_u64 v0, v[8:9]
	s_trap 2
.LBB6_1043:                             ;   in Loop: Header=BB6_1014 Depth=2
	s_or_b32 exec_lo, exec_lo, s61
	s_trap 2
	ds_read_b64 v[8:9], v0
	s_waitcnt lgkmcnt(0)
	buffer_gl0_inv
	v_add_co_u32 v54, vcc_lo, v54, v119
	v_add_co_ci_u32_e64 v55, null, 0, v55, vcc_lo
	s_mov_b32 s61, exec_lo
	v_cmpx_lt_u64_e64 v[8:9], v[54:55]
	s_cbranch_execz .LBB6_1052
; %bb.1044:                             ;   in Loop: Header=BB6_1014 Depth=2
	s_mov_b32 s62, 0
	s_mov_b32 s73, 0
                                        ; implicit-def: $sgpr63
                                        ; implicit-def: $sgpr72
	s_inst_prefetch 0x1
	s_branch .LBB6_1046
	.p2align	6
.LBB6_1045:                             ;   in Loop: Header=BB6_1046 Depth=3
	s_or_b32 exec_lo, exec_lo, s75
	s_and_b32 s74, exec_lo, s76
	s_or_b32 s62, s74, s62
	s_andn2_b32 s63, s63, exec_lo
	s_and_b32 s74, s72, exec_lo
	s_or_b32 s63, s63, s74
	s_andn2_b32 exec_lo, exec_lo, s62
	s_cbranch_execz .LBB6_1050
.LBB6_1046:                             ;   Parent Loop BB6_47 Depth=1
                                        ;     Parent Loop BB6_1014 Depth=2
                                        ; =>    This Inner Loop Header: Depth=3
	s_add_i32 s73, s73, 1
	s_cmpk_lg_i32 s73, 0x2710
	s_cselect_b32 s74, -1, 0
	s_and_b32 vcc_lo, exec_lo, s74
	s_cbranch_vccz .LBB6_1048
; %bb.1047:                             ;   in Loop: Header=BB6_1046 Depth=3
	s_mov_b32 s76, -1
	s_or_b32 s72, s72, exec_lo
	s_and_saveexec_b32 s75, s74
	s_cbranch_execz .LBB6_1045
	s_branch .LBB6_1049
	.p2align	6
.LBB6_1048:                             ;   in Loop: Header=BB6_1046 Depth=3
	s_trap 2
	ds_read_b64 v[8:9], v0
	s_andn2_b32 s74, s74, exec_lo
	s_mov_b32 s73, 0
	s_waitcnt lgkmcnt(0)
	flat_load_dword v1, v[8:9] glc dlc
	s_waitcnt vmcnt(0) lgkmcnt(0)
	buffer_gl1_inv
	buffer_gl0_inv
	v_cmp_eq_u32_e32 vcc_lo, 0, v1
	s_and_b32 s75, vcc_lo, exec_lo
	s_or_b32 s74, s74, s75
	s_mov_b32 s76, -1
	s_or_b32 s72, s72, exec_lo
	s_and_saveexec_b32 s75, s74
	s_cbranch_execz .LBB6_1045
.LBB6_1049:                             ;   in Loop: Header=BB6_1046 Depth=3
	s_sleep 1
	s_trap 2
	ds_read_b64 v[8:9], v0
	s_waitcnt lgkmcnt(0)
	buffer_gl0_inv
	s_andn2_b32 s72, s72, exec_lo
	v_cmp_ge_u64_e32 vcc_lo, v[8:9], v[54:55]
	s_orn2_b32 s76, vcc_lo, exec_lo
	s_branch .LBB6_1045
.LBB6_1050:                             ;   in Loop: Header=BB6_1014 Depth=2
	s_inst_prefetch 0x2
	s_or_b32 exec_lo, exec_lo, s62
	s_and_saveexec_b32 s62, s63
	s_xor_b32 s62, exec_lo, s62
	s_cbranch_execz .LBB6_1052
; %bb.1051:                             ;   in Loop: Header=BB6_1014 Depth=2
	ds_write_b32 v0, v41
	s_trap 2
.LBB6_1052:                             ;   in Loop: Header=BB6_1014 Depth=2
	s_or_b32 exec_lo, exec_lo, s61
	;;#ASMSTART
	s_wakeup
	;;#ASMEND
.LBB6_1053:                             ;   in Loop: Header=BB6_1014 Depth=2
	s_or_b32 exec_lo, exec_lo, s23
.LBB6_1054:                             ;   in Loop: Header=BB6_1014 Depth=2
	s_andn2_saveexec_b32 s17, s17
	s_cbranch_execz .LBB6_1056
; %bb.1055:                             ;   in Loop: Header=BB6_1014 Depth=2
	s_waitcnt vmcnt(0) lgkmcnt(0)
	s_waitcnt_vscnt null, 0x0
	buffer_gl1_inv
	buffer_gl0_inv
	s_barrier
.LBB6_1056:                             ;   in Loop: Header=BB6_1014 Depth=2
	s_or_b32 exec_lo, exec_lo, s17
.LBB6_1057:                             ;   in Loop: Header=BB6_1014 Depth=2
	s_or_b32 exec_lo, exec_lo, s16
	s_trap 2
	ds_read_b32 v12, v0
	v_and_b32_e32 v1, 0x4000, v116
	s_xor_b32 s16, s5, -1
	v_cmp_ne_u32_e32 vcc_lo, 0, v1
	s_and_b32 s17, s16, vcc_lo
	s_and_saveexec_b32 s16, s17
	s_cbranch_execz .LBB6_1076
; %bb.1058:                             ;   in Loop: Header=BB6_1014 Depth=2
	s_and_saveexec_b32 s17, s29
	s_xor_b32 s17, exec_lo, s17
	s_cbranch_execz .LBB6_1073
; %bb.1059:                             ;   in Loop: Header=BB6_1014 Depth=2
	s_and_saveexec_b32 s23, s11
	s_cbranch_execz .LBB6_1072
; %bb.1060:                             ;   in Loop: Header=BB6_1014 Depth=2
	s_mov_b32 s62, exec_lo
	s_mov_b32 s61, exec_lo
	v_mbcnt_lo_u32_b32 v1, s62, 0
	s_waitcnt vmcnt(0) lgkmcnt(0)
	s_waitcnt_vscnt null, 0x0
	buffer_gl1_inv
	buffer_gl0_inv
	v_cmpx_eq_u32_e32 0, v1
	s_cbranch_execz .LBB6_1062
; %bb.1061:                             ;   in Loop: Header=BB6_1014 Depth=2
	s_bcnt1_i32_b32 s62, s62
	v_mov_b32_e32 v9, v2
	v_mov_b32_e32 v8, s62
	ds_add_u64 v0, v[8:9]
	s_trap 2
.LBB6_1062:                             ;   in Loop: Header=BB6_1014 Depth=2
	s_or_b32 exec_lo, exec_lo, s61
	s_trap 2
	ds_read_b64 v[8:9], v0
	s_waitcnt lgkmcnt(0)
	buffer_gl0_inv
	v_add_co_u32 v54, vcc_lo, v54, v119
	v_add_co_ci_u32_e64 v55, null, 0, v55, vcc_lo
	s_mov_b32 s61, exec_lo
	v_cmpx_lt_u64_e64 v[8:9], v[54:55]
	s_cbranch_execz .LBB6_1071
; %bb.1063:                             ;   in Loop: Header=BB6_1014 Depth=2
	s_mov_b32 s62, 0
	s_mov_b32 s73, 0
                                        ; implicit-def: $sgpr63
                                        ; implicit-def: $sgpr72
	s_inst_prefetch 0x1
	s_branch .LBB6_1065
	.p2align	6
.LBB6_1064:                             ;   in Loop: Header=BB6_1065 Depth=3
	s_or_b32 exec_lo, exec_lo, s75
	s_and_b32 s74, exec_lo, s76
	s_or_b32 s62, s74, s62
	s_andn2_b32 s63, s63, exec_lo
	s_and_b32 s74, s72, exec_lo
	s_or_b32 s63, s63, s74
	s_andn2_b32 exec_lo, exec_lo, s62
	s_cbranch_execz .LBB6_1069
.LBB6_1065:                             ;   Parent Loop BB6_47 Depth=1
                                        ;     Parent Loop BB6_1014 Depth=2
                                        ; =>    This Inner Loop Header: Depth=3
	s_add_i32 s73, s73, 1
	s_cmpk_lg_i32 s73, 0x2710
	s_cselect_b32 s74, -1, 0
	s_and_b32 vcc_lo, exec_lo, s74
	s_cbranch_vccz .LBB6_1067
; %bb.1066:                             ;   in Loop: Header=BB6_1065 Depth=3
	s_mov_b32 s76, -1
	s_or_b32 s72, s72, exec_lo
	s_and_saveexec_b32 s75, s74
	s_cbranch_execz .LBB6_1064
	s_branch .LBB6_1068
	.p2align	6
.LBB6_1067:                             ;   in Loop: Header=BB6_1065 Depth=3
	s_trap 2
	ds_read_b64 v[8:9], v0
	s_andn2_b32 s74, s74, exec_lo
	s_mov_b32 s73, 0
	s_waitcnt lgkmcnt(0)
	flat_load_dword v1, v[8:9] glc dlc
	s_waitcnt vmcnt(0) lgkmcnt(0)
	buffer_gl1_inv
	buffer_gl0_inv
	v_cmp_eq_u32_e32 vcc_lo, 0, v1
	s_and_b32 s75, vcc_lo, exec_lo
	s_or_b32 s74, s74, s75
	s_mov_b32 s76, -1
	s_or_b32 s72, s72, exec_lo
	s_and_saveexec_b32 s75, s74
	s_cbranch_execz .LBB6_1064
.LBB6_1068:                             ;   in Loop: Header=BB6_1065 Depth=3
	s_sleep 1
	s_trap 2
	ds_read_b64 v[8:9], v0
	s_waitcnt lgkmcnt(0)
	buffer_gl0_inv
	s_andn2_b32 s72, s72, exec_lo
	v_cmp_ge_u64_e32 vcc_lo, v[8:9], v[54:55]
	s_orn2_b32 s76, vcc_lo, exec_lo
	s_branch .LBB6_1064
.LBB6_1069:                             ;   in Loop: Header=BB6_1014 Depth=2
	s_inst_prefetch 0x2
	s_or_b32 exec_lo, exec_lo, s62
	s_and_saveexec_b32 s62, s63
	s_xor_b32 s62, exec_lo, s62
	s_cbranch_execz .LBB6_1071
; %bb.1070:                             ;   in Loop: Header=BB6_1014 Depth=2
	ds_write_b32 v0, v41
	s_trap 2
.LBB6_1071:                             ;   in Loop: Header=BB6_1014 Depth=2
	s_or_b32 exec_lo, exec_lo, s61
	;;#ASMSTART
	s_wakeup
	;;#ASMEND
.LBB6_1072:                             ;   in Loop: Header=BB6_1014 Depth=2
	s_or_b32 exec_lo, exec_lo, s23
.LBB6_1073:                             ;   in Loop: Header=BB6_1014 Depth=2
	s_andn2_saveexec_b32 s17, s17
	s_cbranch_execz .LBB6_1075
; %bb.1074:                             ;   in Loop: Header=BB6_1014 Depth=2
	s_waitcnt vmcnt(0) lgkmcnt(0)
	s_waitcnt_vscnt null, 0x0
	buffer_gl1_inv
	buffer_gl0_inv
	s_barrier
.LBB6_1075:                             ;   in Loop: Header=BB6_1014 Depth=2
	s_or_b32 exec_lo, exec_lo, s17
.LBB6_1076:                             ;   in Loop: Header=BB6_1014 Depth=2
	s_or_b32 exec_lo, exec_lo, s16
	s_trap 2
	ds_read_b64 v[8:9], v0
	v_sub_nc_u32_e32 v1, v3, v17
	v_min_i32_e32 v16, v16, v1
	s_waitcnt lgkmcnt(0)
	v_cmp_eq_u64_e32 vcc_lo, 0, v[8:9]
	s_cbranch_vccnz .LBB6_1084
; %bb.1077:                             ;   in Loop: Header=BB6_1014 Depth=2
	s_trap 2
	ds_read_b64 v[10:11], v0
	s_waitcnt lgkmcnt(0)
	v_cmp_eq_u64_e32 vcc_lo, 0, v[10:11]
	s_cbranch_vccnz .LBB6_1084
; %bb.1078:                             ;   in Loop: Header=BB6_1014 Depth=2
	s_mov_b32 s16, -1
	s_and_saveexec_b32 s17, s14
	s_cbranch_execz .LBB6_1080
; %bb.1079:                             ;   in Loop: Header=BB6_1014 Depth=2
	ds_read_b32 v1, v0 offset:720
	s_waitcnt lgkmcnt(0)
	v_and_b32_e32 v1, 15, v1
	v_cmp_eq_u32_e32 vcc_lo, 0, v1
	s_orn2_b32 s16, vcc_lo, exec_lo
.LBB6_1080:                             ;   in Loop: Header=BB6_1014 Depth=2
	s_or_b32 exec_lo, exec_lo, s17
	s_and_saveexec_b32 s17, s12
	s_cbranch_execz .LBB6_1082
; %bb.1081:                             ;   in Loop: Header=BB6_1014 Depth=2
	ds_read_b32 v1, v0 offset:784
	s_waitcnt lgkmcnt(0)
	v_and_b32_e32 v1, 15, v1
	v_cmp_eq_u32_e32 vcc_lo, 0, v1
	s_and_b32 s23, s16, vcc_lo
	s_andn2_b32 s16, s16, exec_lo
	s_and_b32 s23, s23, exec_lo
	s_or_b32 s16, s16, s23
.LBB6_1082:                             ;   in Loop: Header=BB6_1014 Depth=2
	s_or_b32 exec_lo, exec_lo, s17
	v_cmp_eq_u32_e32 vcc_lo, 0, v12
	s_xor_b32 s16, s16, -1
	v_mov_b32_e32 v12, 0
	v_cndmask_b32_e64 v1, 0, 1, s16
	v_mov_b32_e32 v14, v0
	v_cndmask_b32_e32 v20, 0, v16, vcc_lo
	v_mov_b32_e32 v25, v60
	s_mov_b32 s16, -1
	v_cmp_ne_u32_e32 vcc_lo, 0, v1
	v_mov_b32_e32 v13, v20
	s_cbranch_vccz .LBB6_1089
; %bb.1083:                             ;   in Loop: Header=BB6_1014 Depth=2
	s_and_saveexec_b32 s17, s16
	s_cbranch_execnz .LBB6_1102
	s_branch .LBB6_1110
.LBB6_1084:                             ;   in Loop: Header=BB6_1014 Depth=2
	s_mov_b32 s16, 0
	s_and_saveexec_b32 s17, s6
	s_cbranch_execnz .LBB6_1111
.LBB6_1085:                             ;   in Loop: Header=BB6_1014 Depth=2
	s_or_b32 exec_lo, exec_lo, s17
	s_and_saveexec_b32 s17, s13
	s_xor_b32 s17, exec_lo, s17
	s_cbranch_execz .LBB6_1129
.LBB6_1086:                             ;   in Loop: Header=BB6_1014 Depth=2
	v_and_b32_e32 v1, 16, v116
	v_cmp_ne_u32_e32 vcc_lo, 0, v1
	s_and_b32 s23, vcc_lo, s16
	s_and_saveexec_b32 s16, s23
	s_cbranch_execz .LBB6_1088
; %bb.1087:                             ;   in Loop: Header=BB6_1014 Depth=2
	s_waitcnt vmcnt(0) lgkmcnt(0)
	s_waitcnt_vscnt null, 0x0
	buffer_gl1_inv
	buffer_gl0_inv
.LBB6_1088:                             ;   in Loop: Header=BB6_1014 Depth=2
	s_or_b32 exec_lo, exec_lo, s16
	s_andn2_saveexec_b32 s16, s17
	s_cbranch_execz .LBB6_1148
	s_branch .LBB6_1130
.LBB6_1089:                             ;   in Loop: Header=BB6_1014 Depth=2
	v_ashrrev_i32_e32 v1, 31, v20
	s_mov_b32 s17, exec_lo
	v_lshrrev_b32_e32 v1, 20, v1
	v_add_nc_u32_e32 v1, v20, v1
	v_ashrrev_i32_e32 v22, 12, v1
	v_sub_nc_u32_e32 v21, v22, v60
	v_cmpx_lt_i32_e32 0, v21
	s_cbranch_execz .LBB6_1093
; %bb.1090:                             ;   in Loop: Header=BB6_1014 Depth=2
	v_mov_b32_e32 v13, v11
	v_mov_b32_e32 v15, v9
	;; [unrolled: 1-line block ×4, first 2 shown]
	s_mov_b32 s23, 0
.LBB6_1091:                             ;   Parent Loop BB6_47 Depth=1
                                        ;     Parent Loop BB6_1014 Depth=2
                                        ; =>    This Inner Loop Header: Depth=3
	v_add_co_u32 v86, vcc_lo, v73, v14
	v_add_co_ci_u32_e64 v87, null, v77, v15, vcc_lo
	v_sub_nc_u32_e32 v21, v21, v119
	v_add_co_u32 v90, vcc_lo, 0x800, v86
	v_add_co_ci_u32_e64 v91, null, 0, v87, vcc_lo
	s_clause 0x3
	global_load_dwordx4 v[23:26], v[86:87], off slc
	global_load_dwordx4 v[32:35], v[86:87], off offset:512 slc
	global_load_dwordx4 v[82:85], v[86:87], off offset:1024 slc
	;; [unrolled: 1-line block ×3, first 2 shown]
	s_clause 0x3
	global_load_dwordx4 v[100:103], v[90:91], off slc
	global_load_dwordx4 v[112:115], v[90:91], off offset:512 slc
	global_load_dwordx4 v[86:89], v[90:91], off offset:1024 slc
	;; [unrolled: 1-line block ×3, first 2 shown]
	v_add_co_u32 v94, vcc_lo, v73, v12
	v_add_co_ci_u32_e64 v95, null, v77, v13, vcc_lo
	v_add_co_u32 v14, vcc_lo, v14, v45
	v_add_co_ci_u32_e64 v15, null, 0, v15, vcc_lo
	;; [unrolled: 2-line block ×3, first 2 shown]
	v_cmp_gt_i32_e32 vcc_lo, 1, v21
	v_add_co_u32 v104, s16, 0x800, v94
	v_add_co_ci_u32_e64 v105, null, 0, v95, s16
	s_or_b32 s23, vcc_lo, s23
	s_waitcnt vmcnt(7)
	global_store_dwordx4 v[94:95], v[23:26], off glc slc
	s_waitcnt vmcnt(6)
	global_store_dwordx4 v[94:95], v[32:35], off offset:512 glc slc
	s_waitcnt vmcnt(5)
	global_store_dwordx4 v[94:95], v[82:85], off offset:1024 glc slc
	;; [unrolled: 2-line block ×3, first 2 shown]
	s_waitcnt vmcnt(3)
	global_store_dwordx4 v[104:105], v[100:103], off glc slc
	s_waitcnt vmcnt(2)
	global_store_dwordx4 v[104:105], v[112:115], off offset:512 glc slc
	s_waitcnt vmcnt(1)
	global_store_dwordx4 v[104:105], v[86:89], off offset:1024 glc slc
	;; [unrolled: 2-line block ×3, first 2 shown]
	s_andn2_b32 exec_lo, exec_lo, s23
	s_cbranch_execnz .LBB6_1091
; %bb.1092:                             ;   in Loop: Header=BB6_1014 Depth=2
	s_or_b32 exec_lo, exec_lo, s23
	s_clause 0x1
	buffer_load_dword v114, off, s[0:3], s33 offset:220
	buffer_load_dword v115, off, s[0:3], s33 offset:224
.LBB6_1093:                             ;   in Loop: Header=BB6_1014 Depth=2
	s_or_b32 exec_lo, exec_lo, s17
	v_lshlrev_b32_e32 v15, 12, v22
	v_mov_b32_e32 v12, 0
	s_mov_b32 s16, 0
	s_mov_b32 s23, exec_lo
                                        ; implicit-def: $vgpr13
                                        ; implicit-def: $vgpr14
                                        ; implicit-def: $vgpr25
	v_cmpx_ne_u32_e64 v20, v15
	s_cbranch_execz .LBB6_1101
; %bb.1094:                             ;   in Loop: Header=BB6_1014 Depth=2
	buffer_load_dword v4, off, s[0:3], s33 offset:188 ; 4-byte Folded Reload
	v_lshlrev_b32_e32 v1, 5, v21
	s_waitcnt vmcnt(1)
	v_sub_nc_u32_e32 v5, v20, v15
	s_mov_b32 s61, exec_lo
	v_ashrrev_i32_e32 v12, 31, v5
	v_lshrrev_b32_e32 v12, 23, v12
	v_add_nc_u32_e32 v12, v5, v12
	v_and_b32_e32 v21, 0xfffffe00, v12
	v_ashrrev_i32_e32 v12, 9, v12
	v_sub_nc_u32_e32 v23, v5, v21
	v_cmp_lt_i32_e32 vcc_lo, 15, v23
	s_waitcnt vmcnt(0)
	v_sub_nc_u32_e32 v1, v4, v1
	v_ashrrev_i32_e32 v4, 31, v1
	v_lshrrev_b32_e32 v4, 27, v4
	v_add_nc_u32_e32 v4, v1, v4
	v_and_b32_e32 v13, 0xffffffe0, v4
	v_sub_nc_u32_e32 v22, v1, v13
	v_ashrrev_i32_e32 v1, 5, v4
	v_lshlrev_b32_e32 v4, 4, v22
	v_lshl_add_u32 v13, v1, 9, v4
	v_add_co_ci_u32_e64 v4, null, 0, v12, vcc_lo
	v_sub_nc_u32_e32 v12, v5, v13
	v_sub_nc_u32_e32 v24, v4, v1
	v_cmpx_lt_i32_e32 15, v12
	s_cbranch_execz .LBB6_1098
; %bb.1095:                             ;   in Loop: Header=BB6_1014 Depth=2
	v_add_nc_u32_e32 v13, v13, v15
	s_mov_b32 s62, 0
	v_ashrrev_i32_e32 v14, 31, v13
	.p2align	6
.LBB6_1096:                             ;   Parent Loop BB6_47 Depth=1
                                        ;     Parent Loop BB6_1014 Depth=2
                                        ; =>    This Inner Loop Header: Depth=3
	v_add_co_u32 v25, s16, v8, v13
	v_add_co_ci_u32_e64 v26, null, v9, v14, s16
	v_sub_nc_u32_e32 v12, v12, v46
	v_sub_nc_u32_e32 v24, v24, v119
	global_load_dwordx4 v[32:35], v[25:26], off slc
	v_add_co_u32 v25, s16, v10, v13
	v_add_co_ci_u32_e64 v26, null, v11, v14, s16
	v_cmp_gt_i32_e64 s16, 16, v12
	v_add_co_u32 v13, s17, v13, v46
	v_add_co_ci_u32_e64 v14, null, 0, v14, s17
	s_or_b32 s62, s16, s62
	s_waitcnt vmcnt(0)
	global_store_dwordx4 v[25:26], v[32:35], off glc slc
	s_andn2_b32 exec_lo, exec_lo, s62
	s_cbranch_execnz .LBB6_1096
; %bb.1097:                             ;   in Loop: Header=BB6_1014 Depth=2
	s_or_b32 exec_lo, exec_lo, s62
.LBB6_1098:                             ;   in Loop: Header=BB6_1014 Depth=2
	s_or_b32 exec_lo, exec_lo, s61
	v_and_b32_e32 v26, 15, v20
	v_mov_b32_e32 v12, 0
	s_mov_b32 s17, 0
	s_mov_b32 s61, exec_lo
                                        ; implicit-def: $vgpr14
                                        ; implicit-def: $vgpr25
	v_cndmask_b32_e32 v13, v23, v26, vcc_lo
	v_cmpx_ne_u32_e32 0, v13
	s_cbranch_execz .LBB6_1100
; %bb.1099:                             ;   in Loop: Header=BB6_1014 Depth=2
	v_cmp_lt_i32_e64 s16, 0, v24
	v_sub_nc_u32_e32 v4, v23, v26
	s_mov_b32 s17, exec_lo
	v_cndmask_b32_e64 v1, 0, v119, s16
	v_cndmask_b32_e32 v4, 0, v4, vcc_lo
	v_sub_nc_u32_e32 v1, v1, v24
	v_add3_u32 v12, v21, v15, v4
	v_lshl_add_u32 v14, v1, 5, v22
	v_ashrrev_i32_e32 v1, 31, v14
	v_lshrrev_b32_e32 v1, 27, v1
	v_add_nc_u32_e32 v1, v14, v1
	v_ashrrev_i32_e32 v25, 5, v1
.LBB6_1100:                             ;   in Loop: Header=BB6_1014 Depth=2
	s_or_b32 exec_lo, exec_lo, s61
	s_clause 0x1
	buffer_load_dword v4, off, s[0:3], s33 offset:228
	buffer_load_dword v5, off, s[0:3], s33 offset:232
	s_and_b32 s16, s17, exec_lo
.LBB6_1101:                             ;   in Loop: Header=BB6_1014 Depth=2
	s_or_b32 exec_lo, exec_lo, s23
	s_and_saveexec_b32 s17, s16
	s_cbranch_execz .LBB6_1110
.LBB6_1102:                             ;   in Loop: Header=BB6_1014 Depth=2
	v_ashrrev_i32_e32 v1, 31, v13
	s_mov_b32 s16, exec_lo
	v_lshrrev_b32_e32 v1, 22, v1
	v_add_nc_u32_e32 v1, v13, v1
	v_ashrrev_i32_e32 v22, 10, v1
	v_ashrrev_i32_e32 v1, 31, v14
	v_sub_nc_u32_e32 v15, v22, v25
	v_lshrrev_b32_e32 v21, 27, v1
	v_cmpx_lt_i32_e32 0, v15
	s_cbranch_execz .LBB6_1106
; %bb.1103:                             ;   in Loop: Header=BB6_1014 Depth=2
	v_add_nc_u32_e32 v1, v14, v21
	s_waitcnt vmcnt(1)
	v_lshlrev_b32_e32 v4, 10, v25
	s_mov_b32 s23, 0
	v_and_b32_e32 v1, 0xffffffe0, v1
	v_sub_nc_u32_e32 v1, v14, v1
	v_add3_u32 v23, v12, v1, v4
	v_ashrrev_i32_e32 v24, 31, v23
.LBB6_1104:                             ;   Parent Loop BB6_47 Depth=1
                                        ;     Parent Loop BB6_1014 Depth=2
                                        ; =>    This Inner Loop Header: Depth=3
	v_add_co_u32 v25, vcc_lo, v23, v8
	v_add_co_ci_u32_e64 v26, null, v24, v9, vcc_lo
	v_sub_nc_u32_e32 v15, v15, v119
	s_clause 0x1
	flat_load_ubyte v1, v[25:26] slc
	flat_load_ubyte v4, v[25:26] offset:32 slc
	s_waitcnt vmcnt(2)
	s_clause 0x1d
	flat_load_ubyte v5, v[25:26] offset:64 slc
	flat_load_ubyte v27, v[25:26] offset:96 slc
	;; [unrolled: 1-line block ×30, first 2 shown]
	v_add_co_u32 v25, vcc_lo, v23, v10
	v_add_co_ci_u32_e64 v26, null, v24, v11, vcc_lo
	v_add_co_u32 v8, vcc_lo, v8, v47
	v_add_co_ci_u32_e64 v9, null, 0, v9, vcc_lo
	;; [unrolled: 2-line block ×3, first 2 shown]
	v_cmp_gt_i32_e32 vcc_lo, 1, v15
	s_waitcnt vmcnt(31) lgkmcnt(31)
	flat_store_byte v[25:26], v1 glc slc
	s_waitcnt vmcnt(30) lgkmcnt(31)
	flat_store_byte v[25:26], v4 offset:32 glc slc
	s_waitcnt vmcnt(29) lgkmcnt(31)
	flat_store_byte v[25:26], v5 offset:64 glc slc
	;; [unrolled: 2-line block ×31, first 2 shown]
	s_or_b32 s23, vcc_lo, s23
	s_andn2_b32 exec_lo, exec_lo, s23
	s_cbranch_execnz .LBB6_1104
; %bb.1105:                             ;   in Loop: Header=BB6_1014 Depth=2
	s_or_b32 exec_lo, exec_lo, s23
	s_clause 0x1
	buffer_load_dword v4, off, s[0:3], s33 offset:228
	buffer_load_dword v5, off, s[0:3], s33 offset:232
.LBB6_1106:                             ;   in Loop: Header=BB6_1014 Depth=2
	s_or_b32 exec_lo, exec_lo, s16
	v_lshlrev_b32_e32 v8, 10, v22
	v_cmp_ne_u32_e32 vcc_lo, v13, v8
	s_and_b32 exec_lo, exec_lo, vcc_lo
	s_cbranch_execz .LBB6_1110
; %bb.1107:                             ;   in Loop: Header=BB6_1014 Depth=2
	v_add_nc_u32_e32 v1, v14, v21
	s_waitcnt vmcnt(1)
	v_lshlrev_b32_e32 v4, 5, v15
	v_and_b32_e32 v1, 0xffffffe0, v1
	v_sub_nc_u32_e32 v1, v14, v1
	v_sub_nc_u32_e32 v1, v1, v4
	s_clause 0x1
	buffer_load_dword v4, off, s[0:3], s33 offset:228
	buffer_load_dword v5, off, s[0:3], s33 offset:232
	v_add_nc_u32_e32 v11, v8, v1
	v_sub_nc_u32_e32 v10, v13, v11
	v_cmp_lt_i32_e32 vcc_lo, 0, v10
	s_and_b32 exec_lo, exec_lo, vcc_lo
	s_cbranch_execz .LBB6_1110
; %bb.1108:                             ;   in Loop: Header=BB6_1014 Depth=2
	s_trap 2
	ds_read_b64 v[8:9], v0
	v_add_nc_u32_e32 v11, v11, v12
	s_mov_b32 s23, 0
	v_ashrrev_i32_e32 v12, 31, v11
	.p2align	6
.LBB6_1109:                             ;   Parent Loop BB6_47 Depth=1
                                        ;     Parent Loop BB6_1014 Depth=2
                                        ; =>    This Inner Loop Header: Depth=3
	s_waitcnt lgkmcnt(0)
	v_add_co_u32 v13, vcc_lo, v8, v11
	v_add_co_ci_u32_e64 v14, null, v9, v12, vcc_lo
	v_sub_nc_u32_e32 v10, v10, v40
	v_add_co_u32 v11, s16, v11, v40
	flat_load_ubyte v1, v[13:14] slc
	v_add_co_ci_u32_e64 v12, null, 0, v12, s16
	v_cmp_gt_i32_e32 vcc_lo, 1, v10
	s_or_b32 s23, vcc_lo, s23
	s_waitcnt vmcnt(0) lgkmcnt(0)
	flat_store_byte v[13:14], v1 glc slc
	s_andn2_b32 exec_lo, exec_lo, s23
	s_cbranch_execnz .LBB6_1109
.LBB6_1110:                             ;   in Loop: Header=BB6_1014 Depth=2
	s_or_b32 exec_lo, exec_lo, s17
	v_cmp_lt_i32_e64 s16, 0, v20
	s_and_saveexec_b32 s17, s6
	s_cbranch_execz .LBB6_1085
.LBB6_1111:                             ;   in Loop: Header=BB6_1014 Depth=2
	s_and_saveexec_b32 s23, s29
	s_xor_b32 s23, exec_lo, s23
	s_cbranch_execz .LBB6_1126
; %bb.1112:                             ;   in Loop: Header=BB6_1014 Depth=2
	s_and_saveexec_b32 s61, s11
	s_cbranch_execz .LBB6_1125
; %bb.1113:                             ;   in Loop: Header=BB6_1014 Depth=2
	s_mov_b32 s63, exec_lo
	s_mov_b32 s62, exec_lo
	v_mbcnt_lo_u32_b32 v1, s63, 0
	s_waitcnt vmcnt(0) lgkmcnt(0)
	s_waitcnt_vscnt null, 0x0
	buffer_gl1_inv
	buffer_gl0_inv
	v_cmpx_eq_u32_e32 0, v1
	s_cbranch_execz .LBB6_1115
; %bb.1114:                             ;   in Loop: Header=BB6_1014 Depth=2
	s_bcnt1_i32_b32 s63, s63
	v_mov_b32_e32 v9, v2
	v_mov_b32_e32 v8, s63
	ds_add_u64 v0, v[8:9]
	s_trap 2
.LBB6_1115:                             ;   in Loop: Header=BB6_1014 Depth=2
	s_or_b32 exec_lo, exec_lo, s62
	s_trap 2
	ds_read_b64 v[8:9], v0
	s_waitcnt lgkmcnt(0)
	buffer_gl0_inv
	v_add_co_u32 v54, vcc_lo, v54, v119
	v_add_co_ci_u32_e64 v55, null, 0, v55, vcc_lo
	s_mov_b32 s62, exec_lo
	v_cmpx_lt_u64_e64 v[8:9], v[54:55]
	s_cbranch_execz .LBB6_1124
; %bb.1116:                             ;   in Loop: Header=BB6_1014 Depth=2
	s_mov_b32 s63, 0
	s_mov_b32 s74, 0
                                        ; implicit-def: $sgpr72
                                        ; implicit-def: $sgpr73
	s_inst_prefetch 0x1
	s_branch .LBB6_1118
	.p2align	6
.LBB6_1117:                             ;   in Loop: Header=BB6_1118 Depth=3
	s_or_b32 exec_lo, exec_lo, s76
	s_and_b32 s75, exec_lo, s77
	s_or_b32 s63, s75, s63
	s_andn2_b32 s72, s72, exec_lo
	s_and_b32 s75, s73, exec_lo
	s_or_b32 s72, s72, s75
	s_andn2_b32 exec_lo, exec_lo, s63
	s_cbranch_execz .LBB6_1122
.LBB6_1118:                             ;   Parent Loop BB6_47 Depth=1
                                        ;     Parent Loop BB6_1014 Depth=2
                                        ; =>    This Inner Loop Header: Depth=3
	s_add_i32 s74, s74, 1
	s_cmpk_lg_i32 s74, 0x2710
	s_cselect_b32 s75, -1, 0
	s_and_b32 vcc_lo, exec_lo, s75
	s_cbranch_vccz .LBB6_1120
; %bb.1119:                             ;   in Loop: Header=BB6_1118 Depth=3
	s_mov_b32 s77, -1
	s_or_b32 s73, s73, exec_lo
	s_and_saveexec_b32 s76, s75
	s_cbranch_execz .LBB6_1117
	s_branch .LBB6_1121
	.p2align	6
.LBB6_1120:                             ;   in Loop: Header=BB6_1118 Depth=3
	s_trap 2
	ds_read_b64 v[8:9], v0
	s_andn2_b32 s75, s75, exec_lo
	s_mov_b32 s74, 0
	s_waitcnt lgkmcnt(0)
	flat_load_dword v1, v[8:9] glc dlc
	s_waitcnt vmcnt(0) lgkmcnt(0)
	buffer_gl1_inv
	buffer_gl0_inv
	v_cmp_eq_u32_e32 vcc_lo, 0, v1
	s_and_b32 s76, vcc_lo, exec_lo
	s_or_b32 s75, s75, s76
	s_mov_b32 s77, -1
	s_or_b32 s73, s73, exec_lo
	s_and_saveexec_b32 s76, s75
	s_cbranch_execz .LBB6_1117
.LBB6_1121:                             ;   in Loop: Header=BB6_1118 Depth=3
	s_sleep 1
	s_trap 2
	ds_read_b64 v[8:9], v0
	s_waitcnt lgkmcnt(0)
	buffer_gl0_inv
	s_andn2_b32 s73, s73, exec_lo
	v_cmp_ge_u64_e32 vcc_lo, v[8:9], v[54:55]
	s_orn2_b32 s77, vcc_lo, exec_lo
	s_branch .LBB6_1117
.LBB6_1122:                             ;   in Loop: Header=BB6_1014 Depth=2
	s_inst_prefetch 0x2
	s_or_b32 exec_lo, exec_lo, s63
	s_and_saveexec_b32 s63, s72
	s_xor_b32 s63, exec_lo, s63
	s_cbranch_execz .LBB6_1124
; %bb.1123:                             ;   in Loop: Header=BB6_1014 Depth=2
	ds_write_b32 v0, v41
	s_trap 2
.LBB6_1124:                             ;   in Loop: Header=BB6_1014 Depth=2
	s_or_b32 exec_lo, exec_lo, s62
	;;#ASMSTART
	s_wakeup
	;;#ASMEND
.LBB6_1125:                             ;   in Loop: Header=BB6_1014 Depth=2
	s_or_b32 exec_lo, exec_lo, s61
.LBB6_1126:                             ;   in Loop: Header=BB6_1014 Depth=2
	s_andn2_saveexec_b32 s23, s23
	s_cbranch_execz .LBB6_1128
; %bb.1127:                             ;   in Loop: Header=BB6_1014 Depth=2
	s_waitcnt vmcnt(0) lgkmcnt(0)
	s_waitcnt_vscnt null, 0x0
	buffer_gl1_inv
	buffer_gl0_inv
	s_barrier
.LBB6_1128:                             ;   in Loop: Header=BB6_1014 Depth=2
	s_or_b32 exec_lo, exec_lo, s23
	s_or_b32 exec_lo, exec_lo, s17
	s_and_saveexec_b32 s17, s13
	s_xor_b32 s17, exec_lo, s17
	s_cbranch_execnz .LBB6_1086
.LBB6_1129:                             ;   in Loop: Header=BB6_1014 Depth=2
	s_andn2_saveexec_b32 s16, s17
	s_cbranch_execz .LBB6_1148
.LBB6_1130:                             ;   in Loop: Header=BB6_1014 Depth=2
	s_and_saveexec_b32 s17, s29
	s_xor_b32 s17, exec_lo, s17
	s_cbranch_execz .LBB6_1145
; %bb.1131:                             ;   in Loop: Header=BB6_1014 Depth=2
	s_and_saveexec_b32 s23, s11
	s_cbranch_execz .LBB6_1144
; %bb.1132:                             ;   in Loop: Header=BB6_1014 Depth=2
	s_mov_b32 s62, exec_lo
	s_mov_b32 s61, exec_lo
	v_mbcnt_lo_u32_b32 v1, s62, 0
	;;#ASMSTART
	s_waitcnt lgkmcnt(0) vmcnt(0)
	;;#ASMEND
	v_cmpx_eq_u32_e32 0, v1
	s_cbranch_execz .LBB6_1134
; %bb.1133:                             ;   in Loop: Header=BB6_1014 Depth=2
	s_bcnt1_i32_b32 s62, s62
	v_mov_b32_e32 v9, v2
	v_mov_b32_e32 v8, s62
	s_waitcnt vmcnt(0) lgkmcnt(0)
	s_waitcnt_vscnt null, 0x0
	ds_add_u64 v0, v[8:9]
	s_trap 2
.LBB6_1134:                             ;   in Loop: Header=BB6_1014 Depth=2
	s_or_b32 exec_lo, exec_lo, s61
	s_trap 2
	ds_read_b64 v[8:9], v0
	s_waitcnt vmcnt(0) lgkmcnt(0)
	buffer_gl0_inv
	v_add_co_u32 v54, vcc_lo, v54, v119
	v_add_co_ci_u32_e64 v55, null, 0, v55, vcc_lo
	s_mov_b32 s61, exec_lo
	v_cmpx_lt_u64_e64 v[8:9], v[54:55]
	s_cbranch_execz .LBB6_1143
; %bb.1135:                             ;   in Loop: Header=BB6_1014 Depth=2
	s_mov_b32 s62, 0
	s_mov_b32 s73, 0
                                        ; implicit-def: $sgpr63
                                        ; implicit-def: $sgpr72
	s_inst_prefetch 0x1
	s_branch .LBB6_1137
	.p2align	6
.LBB6_1136:                             ;   in Loop: Header=BB6_1137 Depth=3
	s_or_b32 exec_lo, exec_lo, s75
	s_and_b32 s74, exec_lo, s76
	s_or_b32 s62, s74, s62
	s_andn2_b32 s63, s63, exec_lo
	s_and_b32 s74, s72, exec_lo
	s_or_b32 s63, s63, s74
	s_andn2_b32 exec_lo, exec_lo, s62
	s_cbranch_execz .LBB6_1141
.LBB6_1137:                             ;   Parent Loop BB6_47 Depth=1
                                        ;     Parent Loop BB6_1014 Depth=2
                                        ; =>    This Inner Loop Header: Depth=3
	s_add_i32 s73, s73, 1
	s_cmpk_lg_i32 s73, 0x2710
	s_cselect_b32 s74, -1, 0
	s_and_b32 vcc_lo, exec_lo, s74
	s_cbranch_vccz .LBB6_1139
; %bb.1138:                             ;   in Loop: Header=BB6_1137 Depth=3
	s_mov_b32 s76, -1
	s_or_b32 s72, s72, exec_lo
	s_and_saveexec_b32 s75, s74
	s_cbranch_execz .LBB6_1136
	s_branch .LBB6_1140
	.p2align	6
.LBB6_1139:                             ;   in Loop: Header=BB6_1137 Depth=3
	s_trap 2
	ds_read_b64 v[8:9], v0
	s_andn2_b32 s74, s74, exec_lo
	s_mov_b32 s73, 0
	s_waitcnt lgkmcnt(0)
	s_waitcnt_vscnt null, 0x0
	flat_load_dword v1, v[8:9] glc dlc
	s_waitcnt vmcnt(0) lgkmcnt(0)
	buffer_gl1_inv
	buffer_gl0_inv
	v_cmp_eq_u32_e32 vcc_lo, 0, v1
	s_and_b32 s75, vcc_lo, exec_lo
	s_or_b32 s74, s74, s75
	s_mov_b32 s76, -1
	s_or_b32 s72, s72, exec_lo
	s_and_saveexec_b32 s75, s74
	s_cbranch_execz .LBB6_1136
.LBB6_1140:                             ;   in Loop: Header=BB6_1137 Depth=3
	s_sleep 1
	s_trap 2
	ds_read_b64 v[8:9], v0
	s_waitcnt lgkmcnt(0)
	buffer_gl0_inv
	s_andn2_b32 s72, s72, exec_lo
	v_cmp_ge_u64_e32 vcc_lo, v[8:9], v[54:55]
	s_orn2_b32 s76, vcc_lo, exec_lo
	s_branch .LBB6_1136
.LBB6_1141:                             ;   in Loop: Header=BB6_1014 Depth=2
	s_inst_prefetch 0x2
	s_or_b32 exec_lo, exec_lo, s62
	s_and_saveexec_b32 s62, s63
	s_xor_b32 s62, exec_lo, s62
	s_cbranch_execz .LBB6_1143
; %bb.1142:                             ;   in Loop: Header=BB6_1014 Depth=2
	ds_write_b32 v0, v41
	s_trap 2
.LBB6_1143:                             ;   in Loop: Header=BB6_1014 Depth=2
	s_or_b32 exec_lo, exec_lo, s61
	;;#ASMSTART
	s_wakeup
	;;#ASMEND
.LBB6_1144:                             ;   in Loop: Header=BB6_1014 Depth=2
	s_or_b32 exec_lo, exec_lo, s23
.LBB6_1145:                             ;   in Loop: Header=BB6_1014 Depth=2
	s_andn2_saveexec_b32 s17, s17
	s_cbranch_execz .LBB6_1147
; %bb.1146:                             ;   in Loop: Header=BB6_1014 Depth=2
	;;#ASMSTART
	s_waitcnt lgkmcnt(0) vmcnt(0)
	;;#ASMEND
	s_barrier
.LBB6_1147:                             ;   in Loop: Header=BB6_1014 Depth=2
	s_or_b32 exec_lo, exec_lo, s17
.LBB6_1148:                             ;   in Loop: Header=BB6_1014 Depth=2
	s_or_b32 exec_lo, exec_lo, s16
	v_and_b32_e32 v1, 32, v116
	s_mov_b32 s16, exec_lo
	v_cmpx_ne_u32_e32 0, v1
	s_cbranch_execz .LBB6_1013
; %bb.1149:                             ;   in Loop: Header=BB6_1014 Depth=2
	v_add_co_u32 v80, vcc_lo, v80, 2
	v_add_co_ci_u32_e64 v81, null, 0, v81, vcc_lo
	s_waitcnt vmcnt(0) lgkmcnt(0)
	s_waitcnt_vscnt null, 0x0
	flat_store_dwordx2 v[48:49], v[80:81]
	s_branch .LBB6_1013
.LBB6_1150:                             ;   in Loop: Header=BB6_47 Depth=1
	s_or_b32 exec_lo, exec_lo, s19
.LBB6_1151:                             ;   in Loop: Header=BB6_47 Depth=1
	s_or_b32 exec_lo, exec_lo, s18
	s_mov_b32 s17, exec_lo
	v_cmpx_gt_i32_e32 2, v10
	s_cbranch_execz .LBB6_46
; %bb.1152:                             ;   in Loop: Header=BB6_47 Depth=1
	v_cmp_eq_u32_e64 s19, 0, v10
	s_mov_b32 s18, 0
	s_branch .LBB6_1154
.LBB6_1153:                             ;   in Loop: Header=BB6_1154 Depth=2
	s_or_b32 exec_lo, exec_lo, s16
	v_add_nc_u32_e32 v17, v16, v17
	s_mov_b32 s19, 0
	s_andn2_b32 exec_lo, exec_lo, s18
	s_cbranch_execz .LBB6_45
.LBB6_1154:                             ;   Parent Loop BB6_47 Depth=1
                                        ; =>  This Loop Header: Depth=2
                                        ;       Child Loop BB6_1160 Depth 3
                                        ;       Child Loop BB6_1184 Depth 3
	;; [unrolled: 1-line block ×3, first 2 shown]
	v_and_b32_e32 v1, 4, v116
	s_mov_b32 s21, exec_lo
	v_cmpx_ne_u32_e32 0, v1
	s_cbranch_execz .LBB6_1176
; %bb.1155:                             ;   in Loop: Header=BB6_1154 Depth=2
	v_add_co_u32 v8, vcc_lo, v80, 2
	v_add_co_ci_u32_e64 v9, null, 0, v81, vcc_lo
	s_mov_b32 s22, exec_lo
	s_waitcnt vmcnt(0) lgkmcnt(1)
	v_cmpx_lt_u64_e64 v[64:65], v[8:9]
	s_cbranch_execz .LBB6_1167
; %bb.1156:                             ;   in Loop: Header=BB6_1154 Depth=2
	v_and_b32_e32 v1, 64, v116
	s_mov_b32 s23, 0
	s_mov_b32 s72, 0
                                        ; implicit-def: $sgpr61
                                        ; implicit-def: $sgpr62
                                        ; implicit-def: $sgpr63
	v_cmp_eq_u32_e32 vcc_lo, 0, v1
	s_branch .LBB6_1160
.LBB6_1157:                             ;   in Loop: Header=BB6_1160 Depth=3
	s_waitcnt vmcnt(0) lgkmcnt(0)
	v_cmp_ge_u64_e64 s16, v[64:65], v[8:9]
	s_or_b32 s75, s75, exec_lo
	s_orn2_b32 s74, s16, exec_lo
.LBB6_1158:                             ;   in Loop: Header=BB6_1160 Depth=3
	s_or_b32 exec_lo, exec_lo, s77
	s_andn2_b32 s16, s63, exec_lo
	s_and_b32 s63, s75, exec_lo
	s_andn2_b32 s62, s62, exec_lo
	s_and_b32 s74, s74, exec_lo
	s_or_b32 s63, s16, s63
	s_or_b32 s62, s62, s74
.LBB6_1159:                             ;   in Loop: Header=BB6_1160 Depth=3
	s_or_b32 exec_lo, exec_lo, s73
	s_and_b32 s16, exec_lo, s62
	s_or_b32 s23, s16, s23
	s_andn2_b32 s16, s61, exec_lo
	s_and_b32 s61, s63, exec_lo
	s_or_b32 s61, s16, s61
	s_andn2_b32 exec_lo, exec_lo, s23
	s_cbranch_execz .LBB6_1164
.LBB6_1160:                             ;   Parent Loop BB6_47 Depth=1
                                        ;     Parent Loop BB6_1154 Depth=2
                                        ; =>    This Inner Loop Header: Depth=3
	s_sleep 1
	s_waitcnt vmcnt(0) lgkmcnt(0)
	flat_load_dwordx2 v[64:65], v[48:49] glc dlc
	s_or_b32 s63, s63, exec_lo
	s_or_b32 s62, s62, exec_lo
                                        ; implicit-def: $vgpr10
	s_and_saveexec_b32 s73, vcc_lo
	s_cbranch_execz .LBB6_1159
; %bb.1161:                             ;   in Loop: Header=BB6_1160 Depth=3
	s_cmpk_lt_i32 s72, 0x270f
	s_mov_b32 s74, -1
	s_cselect_b32 s76, -1, 0
	s_cmpk_gt_i32 s72, 0x270e
	s_cbranch_scc0 .LBB6_1163
; %bb.1162:                             ;   in Loop: Header=BB6_1160 Depth=3
	s_trap 2
	ds_read_b64 v[10:11], v0
	s_andn2_b32 s72, s76, exec_lo
	s_mov_b32 s75, 0
	s_waitcnt vmcnt(0) lgkmcnt(0)
	s_waitcnt_vscnt null, 0x0
	flat_load_dword v10, v[10:11] glc dlc
	s_waitcnt vmcnt(0) lgkmcnt(0)
	buffer_gl1_inv
	buffer_gl0_inv
	v_cmp_eq_u32_e64 s16, 0, v10
	s_and_b32 s16, s16, exec_lo
	s_or_b32 s76, s72, s16
	s_mov_b32 s72, 0
	s_and_saveexec_b32 s77, s76
	s_cbranch_execz .LBB6_1158
	s_branch .LBB6_1157
.LBB6_1163:                             ;   in Loop: Header=BB6_1160 Depth=3
	s_add_i32 s72, s72, 1
	s_mov_b32 s75, -1
                                        ; implicit-def: $vgpr10
	s_and_saveexec_b32 s77, s76
	s_cbranch_execz .LBB6_1158
	s_branch .LBB6_1157
.LBB6_1164:                             ;   in Loop: Header=BB6_1154 Depth=2
	s_or_b32 exec_lo, exec_lo, s23
	s_xor_b32 s16, s61, -1
	s_and_saveexec_b32 s23, s16
	s_xor_b32 s16, exec_lo, s23
	s_cbranch_execz .LBB6_1166
; %bb.1165:                             ;   in Loop: Header=BB6_1154 Depth=2
	v_or_b32_e32 v116, 64, v116
	s_waitcnt vmcnt(0) lgkmcnt(0)
	s_waitcnt_vscnt null, 0x0
	ds_write_b32 v0, v10
	s_trap 2
.LBB6_1166:                             ;   in Loop: Header=BB6_1154 Depth=2
	s_or_b32 exec_lo, exec_lo, s16
.LBB6_1167:                             ;   in Loop: Header=BB6_1154 Depth=2
	s_or_b32 exec_lo, exec_lo, s22
	v_and_b32_e32 v1, 0x100, v116
	v_and_b32_e32 v14, 7, v80
	s_mov_b32 s16, -1
	s_mov_b32 s22, exec_lo
	;;#ASMSTART
	s_wakeup
	;;#ASMEND
                                        ; implicit-def: $vgpr10_vgpr11
	v_cmpx_ne_u32_e32 0, v1
	s_cbranch_execz .LBB6_1171
; %bb.1168:                             ;   in Loop: Header=BB6_1154 Depth=2
	v_mad_u64_u32 v[12:13], null, v14, 24, v[6:7]
	s_mov_b32 s23, exec_lo
                                        ; implicit-def: $vgpr10_vgpr11
	flat_load_dword v1, v[12:13]
	s_waitcnt vmcnt(0) lgkmcnt(0)
	v_cmp_ne_u32_e32 vcc_lo, 1, v1
	v_cmpx_eq_u32_e32 1, v1
	s_cbranch_execz .LBB6_1170
; %bb.1169:                             ;   in Loop: Header=BB6_1154 Depth=2
	flat_load_dword v10, v[12:13] offset:4 glc dlc
	s_waitcnt vmcnt(0) lgkmcnt(0)
	v_ashrrev_i32_e32 v11, 31, v10
.LBB6_1170:                             ;   in Loop: Header=BB6_1154 Depth=2
	s_or_b32 exec_lo, exec_lo, s23
	s_orn2_b32 s16, vcc_lo, exec_lo
.LBB6_1171:                             ;   in Loop: Header=BB6_1154 Depth=2
	s_or_b32 exec_lo, exec_lo, s22
	s_and_saveexec_b32 s22, s16
; %bb.1172:                             ;   in Loop: Header=BB6_1154 Depth=2
	v_mad_i64_i32 v[10:11], null, v14, v117, 0
; %bb.1173:                             ;   in Loop: Header=BB6_1154 Depth=2
	s_or_b32 exec_lo, exec_lo, s22
	v_add_co_u32 v10, vcc_lo, v50, v10
	v_and_b32_e32 v1, 0x2000, v116
	v_add_co_ci_u32_e64 v11, null, v51, v11, vcc_lo
	s_mov_b32 s16, exec_lo
	ds_write_b64 v0, v[10:11] offset:720
	v_cmpx_ne_u32_e32 0, v1
	s_cbranch_execz .LBB6_1175
; %bb.1174:                             ;   in Loop: Header=BB6_1154 Depth=2
	ds_read_b64 v[10:11], v0 offset:872
	s_waitcnt lgkmcnt(0)
	v_add_co_u32 v10, vcc_lo, v10, 1
	v_add_co_ci_u32_e64 v11, null, 0, v11, vcc_lo
	ds_write_b64 v0, v[10:11] offset:872
.LBB6_1175:                             ;   in Loop: Header=BB6_1154 Depth=2
	s_or_b32 exec_lo, exec_lo, s16
	v_mov_b32_e32 v81, v9
	v_mov_b32_e32 v80, v8
.LBB6_1176:                             ;   in Loop: Header=BB6_1154 Depth=2
	s_or_b32 exec_lo, exec_lo, s21
	s_xor_b32 s16, s19, -1
	s_and_b32 s16, exec_lo, s16
	s_or_b32 s18, s16, s18
	s_and_saveexec_b32 s16, s6
	s_cbranch_execz .LBB6_1195
; %bb.1177:                             ;   in Loop: Header=BB6_1154 Depth=2
	s_and_saveexec_b32 s19, s29
	s_xor_b32 s19, exec_lo, s19
	s_cbranch_execz .LBB6_1192
; %bb.1178:                             ;   in Loop: Header=BB6_1154 Depth=2
	s_and_saveexec_b32 s21, s11
	s_cbranch_execz .LBB6_1191
; %bb.1179:                             ;   in Loop: Header=BB6_1154 Depth=2
	s_mov_b32 s23, exec_lo
	s_mov_b32 s22, exec_lo
	v_mbcnt_lo_u32_b32 v1, s23, 0
	s_waitcnt vmcnt(0) lgkmcnt(0)
	s_waitcnt_vscnt null, 0x0
	buffer_gl1_inv
	buffer_gl0_inv
	v_cmpx_eq_u32_e32 0, v1
	s_cbranch_execz .LBB6_1181
; %bb.1180:                             ;   in Loop: Header=BB6_1154 Depth=2
	s_bcnt1_i32_b32 s23, s23
	v_mov_b32_e32 v9, v2
	v_mov_b32_e32 v8, s23
	ds_add_u64 v0, v[8:9]
	s_trap 2
.LBB6_1181:                             ;   in Loop: Header=BB6_1154 Depth=2
	s_or_b32 exec_lo, exec_lo, s22
	s_trap 2
	ds_read_b64 v[8:9], v0
	s_waitcnt lgkmcnt(0)
	buffer_gl0_inv
	v_add_co_u32 v54, vcc_lo, v54, v119
	v_add_co_ci_u32_e64 v55, null, 0, v55, vcc_lo
	s_mov_b32 s22, exec_lo
	v_cmpx_lt_u64_e64 v[8:9], v[54:55]
	s_cbranch_execz .LBB6_1190
; %bb.1182:                             ;   in Loop: Header=BB6_1154 Depth=2
	s_mov_b32 s23, 0
	s_mov_b32 s63, 0
                                        ; implicit-def: $sgpr61
                                        ; implicit-def: $sgpr62
	s_inst_prefetch 0x1
	s_branch .LBB6_1184
	.p2align	6
.LBB6_1183:                             ;   in Loop: Header=BB6_1184 Depth=3
	s_or_b32 exec_lo, exec_lo, s73
	s_and_b32 s72, exec_lo, s74
	s_or_b32 s23, s72, s23
	s_andn2_b32 s61, s61, exec_lo
	s_and_b32 s72, s62, exec_lo
	s_or_b32 s61, s61, s72
	s_andn2_b32 exec_lo, exec_lo, s23
	s_cbranch_execz .LBB6_1188
.LBB6_1184:                             ;   Parent Loop BB6_47 Depth=1
                                        ;     Parent Loop BB6_1154 Depth=2
                                        ; =>    This Inner Loop Header: Depth=3
	s_add_i32 s63, s63, 1
	s_cmpk_lg_i32 s63, 0x2710
	s_cselect_b32 s72, -1, 0
	s_and_b32 vcc_lo, exec_lo, s72
	s_cbranch_vccz .LBB6_1186
; %bb.1185:                             ;   in Loop: Header=BB6_1184 Depth=3
	s_mov_b32 s74, -1
	s_or_b32 s62, s62, exec_lo
	s_and_saveexec_b32 s73, s72
	s_cbranch_execz .LBB6_1183
	s_branch .LBB6_1187
	.p2align	6
.LBB6_1186:                             ;   in Loop: Header=BB6_1184 Depth=3
	s_trap 2
	ds_read_b64 v[8:9], v0
	s_andn2_b32 s72, s72, exec_lo
	s_mov_b32 s63, 0
	s_waitcnt lgkmcnt(0)
	flat_load_dword v1, v[8:9] glc dlc
	s_waitcnt vmcnt(0) lgkmcnt(0)
	buffer_gl1_inv
	buffer_gl0_inv
	v_cmp_eq_u32_e32 vcc_lo, 0, v1
	s_and_b32 s73, vcc_lo, exec_lo
	s_or_b32 s72, s72, s73
	s_mov_b32 s74, -1
	s_or_b32 s62, s62, exec_lo
	s_and_saveexec_b32 s73, s72
	s_cbranch_execz .LBB6_1183
.LBB6_1187:                             ;   in Loop: Header=BB6_1184 Depth=3
	s_sleep 1
	s_trap 2
	ds_read_b64 v[8:9], v0
	s_waitcnt lgkmcnt(0)
	buffer_gl0_inv
	s_andn2_b32 s62, s62, exec_lo
	v_cmp_ge_u64_e32 vcc_lo, v[8:9], v[54:55]
	s_orn2_b32 s74, vcc_lo, exec_lo
	s_branch .LBB6_1183
.LBB6_1188:                             ;   in Loop: Header=BB6_1154 Depth=2
	s_inst_prefetch 0x2
	s_or_b32 exec_lo, exec_lo, s23
	s_and_saveexec_b32 s23, s61
	s_xor_b32 s23, exec_lo, s23
	s_cbranch_execz .LBB6_1190
; %bb.1189:                             ;   in Loop: Header=BB6_1154 Depth=2
	ds_write_b32 v0, v41
	s_trap 2
.LBB6_1190:                             ;   in Loop: Header=BB6_1154 Depth=2
	s_or_b32 exec_lo, exec_lo, s22
	;;#ASMSTART
	s_wakeup
	;;#ASMEND
.LBB6_1191:                             ;   in Loop: Header=BB6_1154 Depth=2
	s_or_b32 exec_lo, exec_lo, s21
.LBB6_1192:                             ;   in Loop: Header=BB6_1154 Depth=2
	s_andn2_saveexec_b32 s19, s19
	s_cbranch_execz .LBB6_1194
; %bb.1193:                             ;   in Loop: Header=BB6_1154 Depth=2
	s_waitcnt vmcnt(0) lgkmcnt(0)
	s_waitcnt_vscnt null, 0x0
	buffer_gl1_inv
	buffer_gl0_inv
	s_barrier
.LBB6_1194:                             ;   in Loop: Header=BB6_1154 Depth=2
	s_or_b32 exec_lo, exec_lo, s19
.LBB6_1195:                             ;   in Loop: Header=BB6_1154 Depth=2
	s_or_b32 exec_lo, exec_lo, s16
	v_sub_nc_u32_e32 v1, v3, v17
	v_min_i32_e32 v16, v16, v1
	s_and_saveexec_b32 s16, s13
	s_xor_b32 s19, exec_lo, s16
	s_cbranch_execz .LBB6_1199
; %bb.1196:                             ;   in Loop: Header=BB6_1154 Depth=2
	s_trap 2
	ds_read_b32 v1, v0
	v_cmp_lt_i32_e32 vcc_lo, 0, v16
	s_waitcnt lgkmcnt(0)
	v_readfirstlane_b32 s16, v1
	v_and_b32_e32 v1, 16, v116
	s_cmp_eq_u32 s16, 0
	v_cmp_ne_u32_e64 s16, 0, v1
	s_cselect_b32 s21, -1, 0
	s_and_b32 s21, vcc_lo, s21
	s_and_b32 s21, s16, s21
	s_and_saveexec_b32 s16, s21
	s_cbranch_execz .LBB6_1198
; %bb.1197:                             ;   in Loop: Header=BB6_1154 Depth=2
	s_waitcnt vmcnt(0)
	s_waitcnt_vscnt null, 0x0
	buffer_gl1_inv
	buffer_gl0_inv
.LBB6_1198:                             ;   in Loop: Header=BB6_1154 Depth=2
	s_or_b32 exec_lo, exec_lo, s16
.LBB6_1199:                             ;   in Loop: Header=BB6_1154 Depth=2
	s_andn2_saveexec_b32 s16, s19
	s_cbranch_execz .LBB6_1218
; %bb.1200:                             ;   in Loop: Header=BB6_1154 Depth=2
	s_and_saveexec_b32 s19, s29
	s_xor_b32 s19, exec_lo, s19
	s_cbranch_execz .LBB6_1215
; %bb.1201:                             ;   in Loop: Header=BB6_1154 Depth=2
	s_and_saveexec_b32 s21, s11
	s_cbranch_execz .LBB6_1214
; %bb.1202:                             ;   in Loop: Header=BB6_1154 Depth=2
	s_mov_b32 s23, exec_lo
	s_mov_b32 s22, exec_lo
	v_mbcnt_lo_u32_b32 v1, s23, 0
	;;#ASMSTART
	s_waitcnt lgkmcnt(0) vmcnt(0)
	;;#ASMEND
	v_cmpx_eq_u32_e32 0, v1
	s_cbranch_execz .LBB6_1204
; %bb.1203:                             ;   in Loop: Header=BB6_1154 Depth=2
	s_bcnt1_i32_b32 s23, s23
	v_mov_b32_e32 v9, v2
	v_mov_b32_e32 v8, s23
	s_waitcnt vmcnt(0) lgkmcnt(0)
	s_waitcnt_vscnt null, 0x0
	ds_add_u64 v0, v[8:9]
	s_trap 2
.LBB6_1204:                             ;   in Loop: Header=BB6_1154 Depth=2
	s_or_b32 exec_lo, exec_lo, s22
	s_trap 2
	ds_read_b64 v[8:9], v0
	s_waitcnt vmcnt(0) lgkmcnt(0)
	buffer_gl0_inv
	v_add_co_u32 v54, vcc_lo, v54, v119
	v_add_co_ci_u32_e64 v55, null, 0, v55, vcc_lo
	s_mov_b32 s22, exec_lo
	v_cmpx_lt_u64_e64 v[8:9], v[54:55]
	s_cbranch_execz .LBB6_1213
; %bb.1205:                             ;   in Loop: Header=BB6_1154 Depth=2
	s_mov_b32 s23, 0
	s_mov_b32 s63, 0
                                        ; implicit-def: $sgpr61
                                        ; implicit-def: $sgpr62
	s_inst_prefetch 0x1
	s_branch .LBB6_1207
	.p2align	6
.LBB6_1206:                             ;   in Loop: Header=BB6_1207 Depth=3
	s_or_b32 exec_lo, exec_lo, s73
	s_and_b32 s72, exec_lo, s74
	s_or_b32 s23, s72, s23
	s_andn2_b32 s61, s61, exec_lo
	s_and_b32 s72, s62, exec_lo
	s_or_b32 s61, s61, s72
	s_andn2_b32 exec_lo, exec_lo, s23
	s_cbranch_execz .LBB6_1211
.LBB6_1207:                             ;   Parent Loop BB6_47 Depth=1
                                        ;     Parent Loop BB6_1154 Depth=2
                                        ; =>    This Inner Loop Header: Depth=3
	s_add_i32 s63, s63, 1
	s_cmpk_lg_i32 s63, 0x2710
	s_cselect_b32 s72, -1, 0
	s_and_b32 vcc_lo, exec_lo, s72
	s_cbranch_vccz .LBB6_1209
; %bb.1208:                             ;   in Loop: Header=BB6_1207 Depth=3
	s_mov_b32 s74, -1
	s_or_b32 s62, s62, exec_lo
	s_and_saveexec_b32 s73, s72
	s_cbranch_execz .LBB6_1206
	s_branch .LBB6_1210
	.p2align	6
.LBB6_1209:                             ;   in Loop: Header=BB6_1207 Depth=3
	s_trap 2
	ds_read_b64 v[8:9], v0
	s_andn2_b32 s72, s72, exec_lo
	s_mov_b32 s63, 0
	s_waitcnt lgkmcnt(0)
	s_waitcnt_vscnt null, 0x0
	flat_load_dword v1, v[8:9] glc dlc
	s_waitcnt vmcnt(0) lgkmcnt(0)
	buffer_gl1_inv
	buffer_gl0_inv
	v_cmp_eq_u32_e32 vcc_lo, 0, v1
	s_and_b32 s73, vcc_lo, exec_lo
	s_or_b32 s72, s72, s73
	s_mov_b32 s74, -1
	s_or_b32 s62, s62, exec_lo
	s_and_saveexec_b32 s73, s72
	s_cbranch_execz .LBB6_1206
.LBB6_1210:                             ;   in Loop: Header=BB6_1207 Depth=3
	s_sleep 1
	s_trap 2
	ds_read_b64 v[8:9], v0
	s_waitcnt lgkmcnt(0)
	buffer_gl0_inv
	s_andn2_b32 s62, s62, exec_lo
	v_cmp_ge_u64_e32 vcc_lo, v[8:9], v[54:55]
	s_orn2_b32 s74, vcc_lo, exec_lo
	s_branch .LBB6_1206
.LBB6_1211:                             ;   in Loop: Header=BB6_1154 Depth=2
	s_inst_prefetch 0x2
	s_or_b32 exec_lo, exec_lo, s23
	s_and_saveexec_b32 s23, s61
	s_xor_b32 s23, exec_lo, s23
	s_cbranch_execz .LBB6_1213
; %bb.1212:                             ;   in Loop: Header=BB6_1154 Depth=2
	ds_write_b32 v0, v41
	s_trap 2
.LBB6_1213:                             ;   in Loop: Header=BB6_1154 Depth=2
	s_or_b32 exec_lo, exec_lo, s22
	;;#ASMSTART
	s_wakeup
	;;#ASMEND
.LBB6_1214:                             ;   in Loop: Header=BB6_1154 Depth=2
	s_or_b32 exec_lo, exec_lo, s21
.LBB6_1215:                             ;   in Loop: Header=BB6_1154 Depth=2
	s_andn2_saveexec_b32 s19, s19
	s_cbranch_execz .LBB6_1217
; %bb.1216:                             ;   in Loop: Header=BB6_1154 Depth=2
	;;#ASMSTART
	s_waitcnt lgkmcnt(0) vmcnt(0)
	;;#ASMEND
	s_barrier
.LBB6_1217:                             ;   in Loop: Header=BB6_1154 Depth=2
	s_or_b32 exec_lo, exec_lo, s19
.LBB6_1218:                             ;   in Loop: Header=BB6_1154 Depth=2
	s_or_b32 exec_lo, exec_lo, s16
	v_and_b32_e32 v1, 32, v116
	s_mov_b32 s16, exec_lo
	v_cmpx_ne_u32_e32 0, v1
	s_cbranch_execz .LBB6_1153
; %bb.1219:                             ;   in Loop: Header=BB6_1154 Depth=2
	v_add_co_u32 v80, vcc_lo, v80, 2
	v_add_co_ci_u32_e64 v81, null, 0, v81, vcc_lo
	s_waitcnt vmcnt(0) lgkmcnt(0)
	s_waitcnt_vscnt null, 0x0
	flat_store_dwordx2 v[48:49], v[80:81]
	s_branch .LBB6_1153
.LBB6_1220:
	s_or_b32 exec_lo, exec_lo, s27
	s_clause 0x4
	buffer_load_dword v1, off, s[0:3], s33 offset:268
	buffer_load_dword v31, off, s[0:3], s33 offset:272
	;; [unrolled: 1-line block ×5, first 2 shown]
.LBB6_1221:
	s_or_b32 exec_lo, exec_lo, s26
	v_and_b32_e32 v0, 0x800, v116
	s_mov_b32 s5, exec_lo
	v_cmpx_eq_u32_e32 0, v0
	s_cbranch_execz .LBB6_1254
; %bb.1222:
	v_and_b32_e32 v0, 48, v116
	s_mov_b32 s4, exec_lo
	v_cmpx_ne_u32_e32 0, v0
	s_cbranch_execz .LBB6_1224
; %bb.1223:
	s_waitcnt vmcnt(0)
	flat_store_dwordx2 v[24:25], v[80:81] offset:104
.LBB6_1224:
	s_or_b32 exec_lo, exec_lo, s4
	v_and_b32_e32 v0, 0x88, v116
	s_mov_b32 s6, exec_lo
	v_cmpx_eq_u32_e32 0x88, v0
	s_cbranch_execz .LBB6_1234
; %bb.1225:
	v_add_nc_u32_e32 v0, 6, v80
	s_mov_b32 s7, 0
	v_and_b32_e32 v0, 7, v0
	v_mad_u64_u32 v[2:3], null, v0, 24, v[6:7]
	v_and_b32_e32 v0, 64, v116
	v_cmp_eq_u32_e64 s4, 0, v0
	flat_load_dwordx2 v[4:5], v[2:3] offset:8 glc dlc
	s_waitcnt vmcnt(0) lgkmcnt(0)
	v_cmp_ne_u64_e32 vcc_lo, -1, v[4:5]
	s_and_b32 s4, vcc_lo, s4
	s_and_b32 exec_lo, exec_lo, s4
	s_cbranch_execz .LBB6_1234
; %bb.1226:
	s_mov_b32 s11, 0
                                        ; implicit-def: $sgpr4
                                        ; implicit-def: $sgpr10
	s_inst_prefetch 0x1
	s_branch .LBB6_1229
	.p2align	6
.LBB6_1227:                             ;   in Loop: Header=BB6_1229 Depth=1
	flat_load_dwordx2 v[4:5], v[2:3] offset:8 glc dlc
	s_waitcnt vmcnt(0)
	s_andn2_b32 s10, s10, exec_lo
	s_waitcnt lgkmcnt(0)
	v_cmp_eq_u64_e32 vcc_lo, -1, v[4:5]
	s_orn2_b32 s13, vcc_lo, exec_lo
.LBB6_1228:                             ;   in Loop: Header=BB6_1229 Depth=1
	s_or_b32 exec_lo, exec_lo, s14
	s_and_b32 s12, exec_lo, s13
	s_or_b32 s7, s12, s7
	s_andn2_b32 s4, s4, exec_lo
	s_and_b32 s12, s10, exec_lo
	s_or_b32 s4, s4, s12
	s_andn2_b32 exec_lo, exec_lo, s7
	s_cbranch_execz .LBB6_1232
.LBB6_1229:                             ; =>This Inner Loop Header: Depth=1
	s_cmpk_lt_i32 s11, 0x270f
	s_cselect_b32 s12, -1, 0
	s_and_b32 vcc_lo, exec_lo, s12
	s_cbranch_vccnz .LBB6_1231
; %bb.1230:                             ;   in Loop: Header=BB6_1229 Depth=1
	s_trap 2
	ds_read_b64 v[4:5], v0
	s_andn2_b32 s12, s12, exec_lo
	s_mov_b32 s11, 0
	s_waitcnt lgkmcnt(0)
	s_waitcnt_vscnt null, 0x0
	flat_load_dword v0, v[4:5] glc dlc
	s_waitcnt vmcnt(0) lgkmcnt(0)
	buffer_gl1_inv
	buffer_gl0_inv
	v_cmp_eq_u32_e32 vcc_lo, 0, v0
	s_and_b32 s13, vcc_lo, exec_lo
	s_or_b32 s12, s12, s13
	s_mov_b32 s13, -1
	s_or_b32 s10, s10, exec_lo
	s_and_saveexec_b32 s14, s12
	s_cbranch_execz .LBB6_1228
	s_branch .LBB6_1227
	.p2align	6
.LBB6_1231:                             ;   in Loop: Header=BB6_1229 Depth=1
	s_add_i32 s11, s11, 1
                                        ; implicit-def: $vgpr0
	s_mov_b32 s13, -1
	s_or_b32 s10, s10, exec_lo
	s_and_saveexec_b32 s14, s12
	s_cbranch_execz .LBB6_1228
	s_branch .LBB6_1227
.LBB6_1232:
	s_inst_prefetch 0x2
	s_or_b32 exec_lo, exec_lo, s7
	s_and_saveexec_b32 s7, s4
	s_xor_b32 s7, exec_lo, s7
	s_cbranch_execz .LBB6_1234
; %bb.1233:
	s_waitcnt_vscnt null, 0x0
	ds_write_b32 v0, v0
	s_trap 2
.LBB6_1234:
	s_or_b32 exec_lo, exec_lo, s6
	v_and_b32_e32 v0, 0x2000, v116
	s_mov_b32 s4, exec_lo
	v_cmpx_ne_u32_e32 0, v0
	s_cbranch_execz .LBB6_1236
; %bb.1235:
	s_trap 2
	ds_read_b64 v[2:3], v0
	s_clause 0x1
	buffer_load_dword v4, off, s[0:3], s33 offset:288
	buffer_load_dword v5, off, s[0:3], s33 offset:292
	s_waitcnt vmcnt(0) lgkmcnt(0)
	flat_store_dwordx2 v[4:5], v[2:3] offset:16
.LBB6_1236:
	s_or_b32 exec_lo, exec_lo, s4
	s_waitcnt vmcnt(4)
	v_cmp_ne_u32_e32 vcc_lo, 32, v1
	s_and_b32 exec_lo, exec_lo, vcc_lo
	s_cbranch_execz .LBB6_1254
; %bb.1237:
	s_waitcnt vmcnt(0)
	v_cmp_ne_u32_sdwa s4, v1, v21 src0_sel:DWORD src1_sel:WORD_0
	s_and_saveexec_b32 s6, s4
	s_xor_b32 s4, exec_lo, s6
	s_cbranch_execz .LBB6_1252
; %bb.1238:
	v_and_b32_e32 v0, 31, v31
	s_mov_b32 s6, exec_lo
	v_cmpx_eq_u32_e32 0, v0
	s_cbranch_execz .LBB6_1251
; %bb.1239:
	s_mov_b32 s10, exec_lo
	s_mov_b32 s7, exec_lo
	v_mbcnt_lo_u32_b32 v0, s10, 0
	s_waitcnt lgkmcnt(0)
	s_waitcnt_vscnt null, 0x0
	buffer_gl1_inv
	buffer_gl0_inv
	v_cmpx_eq_u32_e32 0, v0
	s_cbranch_execz .LBB6_1241
; %bb.1240:
	s_bcnt1_i32_b32 s10, s10
	v_mov_b32_e32 v3, 0
	v_mov_b32_e32 v2, s10
	ds_add_u64 v0, v[2:3]
	s_trap 2
.LBB6_1241:
	s_or_b32 exec_lo, exec_lo, s7
	s_trap 2
	ds_read_b64 v[2:3], v0
	s_waitcnt lgkmcnt(0)
	buffer_gl0_inv
	v_lshrrev_b32_e32 v0, 5, v1
	s_mov_b32 s7, exec_lo
	v_add_co_u32 v0, vcc_lo, v54, v0
	v_add_co_ci_u32_e64 v1, null, 0, v55, vcc_lo
	v_cmpx_lt_u64_e64 v[2:3], v[0:1]
	s_cbranch_execz .LBB6_1250
; %bb.1242:
	s_mov_b32 s10, 0
	s_mov_b32 s13, 0
                                        ; implicit-def: $sgpr11
                                        ; implicit-def: $sgpr12
	s_inst_prefetch 0x1
	s_branch .LBB6_1244
	.p2align	6
.LBB6_1243:                             ;   in Loop: Header=BB6_1244 Depth=1
	s_or_b32 exec_lo, exec_lo, s15
	s_and_b32 s14, exec_lo, s16
	s_or_b32 s10, s14, s10
	s_andn2_b32 s11, s11, exec_lo
	s_and_b32 s14, s12, exec_lo
	s_or_b32 s11, s11, s14
	s_andn2_b32 exec_lo, exec_lo, s10
	s_cbranch_execz .LBB6_1248
.LBB6_1244:                             ; =>This Inner Loop Header: Depth=1
	s_add_i32 s13, s13, 1
	s_cmpk_lg_i32 s13, 0x2710
	s_cselect_b32 s14, -1, 0
	s_and_b32 vcc_lo, exec_lo, s14
	s_cbranch_vccz .LBB6_1246
; %bb.1245:                             ;   in Loop: Header=BB6_1244 Depth=1
	s_mov_b32 s16, -1
	s_or_b32 s12, s12, exec_lo
	s_and_saveexec_b32 s15, s14
	s_cbranch_execz .LBB6_1243
	s_branch .LBB6_1247
.LBB6_1246:                             ;   in Loop: Header=BB6_1244 Depth=1
	s_trap 2
	ds_read_b64 v[2:3], v0
	s_andn2_b32 s14, s14, exec_lo
	s_mov_b32 s13, 0
	s_waitcnt lgkmcnt(0)
	flat_load_dword v2, v[2:3] glc dlc
	s_waitcnt vmcnt(0) lgkmcnt(0)
	buffer_gl1_inv
	buffer_gl0_inv
	v_cmp_eq_u32_e32 vcc_lo, 0, v2
	s_and_b32 s15, vcc_lo, exec_lo
	s_or_b32 s14, s14, s15
	s_mov_b32 s16, -1
	s_or_b32 s12, s12, exec_lo
	s_and_saveexec_b32 s15, s14
	s_cbranch_execz .LBB6_1243
.LBB6_1247:                             ;   in Loop: Header=BB6_1244 Depth=1
	s_sleep 1
	s_trap 2
	ds_read_b64 v[2:3], v0
	s_waitcnt lgkmcnt(0)
	buffer_gl0_inv
	s_andn2_b32 s12, s12, exec_lo
	v_cmp_ge_u64_e32 vcc_lo, v[2:3], v[0:1]
	s_orn2_b32 s16, vcc_lo, exec_lo
	s_branch .LBB6_1243
.LBB6_1248:
	s_inst_prefetch 0x2
	s_or_b32 exec_lo, exec_lo, s10
	s_and_saveexec_b32 s10, s11
	s_xor_b32 s10, exec_lo, s10
	s_cbranch_execz .LBB6_1250
; %bb.1249:
	v_mov_b32_e32 v0, 1
	ds_write_b32 v0, v0
	s_trap 2
.LBB6_1250:
	s_or_b32 exec_lo, exec_lo, s7
	;;#ASMSTART
	s_wakeup
	;;#ASMEND
.LBB6_1251:
	s_or_b32 exec_lo, exec_lo, s6
.LBB6_1252:
	s_andn2_saveexec_b32 s4, s4
	s_cbranch_execz .LBB6_1254
; %bb.1253:
	s_waitcnt lgkmcnt(0)
	s_waitcnt_vscnt null, 0x0
	buffer_gl1_inv
	buffer_gl0_inv
	s_barrier
.LBB6_1254:
	s_or_b32 exec_lo, exec_lo, s5
.LBB6_1255:
	s_andn2_saveexec_b32 s25, s24
	s_cbranch_execz .LBB6_1257
; %bb.1256:
	s_getpc_b64 s[4:5]
	s_add_u32 s4, s4, __PRETTY_FUNCTION__._ZN10PrimitivesIh8FuncProdIhE12FanSymmetricILi1EELi0E11ProtoSimpleILi2ELi2ELi0ELi4ELi0ELi0EELi0ELb0ELi0ELi0ELi0EEC2EiiPKiS8_PKvPvmhhhP15ncclDevWorkCollP14ncclDevWorkP2pii@rel32@lo+4
	s_addc_u32 s5, s5, __PRETTY_FUNCTION__._ZN10PrimitivesIh8FuncProdIhE12FanSymmetricILi1EELi0E11ProtoSimpleILi2ELi2ELi0ELi4ELi0ELi0EELi0ELb0ELi0ELi0ELi0EEC2EiiPKiS8_PKvPvmhhhP15ncclDevWorkCollP14ncclDevWorkP2pii@rel32@hi+12
	v_mov_b32_e32 v0, s4
	s_waitcnt vmcnt(4)
	v_mov_b32_e32 v1, s5
	s_getpc_b64 s[6:7]
	s_add_u32 s6, s6, __assert_fail@rel32@lo+4
	s_addc_u32 s7, s7, __assert_fail@rel32@hi+12
	s_swappc_b64 s[30:31], s[6:7]
	; divergent unreachable
.LBB6_1257:
	s_or_b32 exec_lo, exec_lo, s25
	s_clause 0x2e
	buffer_load_dword v126, off, s[0:3], s33
	buffer_load_dword v125, off, s[0:3], s33 offset:4
	buffer_load_dword v124, off, s[0:3], s33 offset:8
	;; [unrolled: 1-line block ×46, first 2 shown]
	v_readlane_b32 s30, v127, 0
	v_readlane_b32 s31, v127, 1
	s_mov_b32 s32, s33
	s_or_saveexec_b32 s4, -1
	buffer_load_dword v127, off, s[0:3], s33 offset:296 ; 4-byte Folded Reload
	s_mov_b32 exec_lo, s4
	s_mov_b32 s33, s88
	s_waitcnt vmcnt(0) lgkmcnt(0)
	s_setpc_b64 s[30:31]
.Lfunc_end6:
	.size	_ZN12_GLOBAL__N_17runRingIh8FuncProdIhE11ProtoSimpleILi2ELi2ELi0ELi4ELi0ELi0EELi0ELi0ELi4ELi0EEEviiP15ncclDevWorkColl, .Lfunc_end6-_ZN12_GLOBAL__N_17runRingIh8FuncProdIhE11ProtoSimpleILi2ELi2ELi0ELi4ELi0ELi0EELi0ELi0ELi4ELi0EEEviiP15ncclDevWorkColl
                                        ; -- End function
	.set .L_ZN12_GLOBAL__N_17runRingIh8FuncProdIhE11ProtoSimpleILi2ELi2ELi0ELi4ELi0ELi0EELi0ELi0ELi4ELi0EEEviiP15ncclDevWorkColl.num_vgpr, max(128, .L__assert_fail.num_vgpr)
	.set .L_ZN12_GLOBAL__N_17runRingIh8FuncProdIhE11ProtoSimpleILi2ELi2ELi0ELi4ELi0ELi0EELi0ELi0ELi4ELi0EEEviiP15ncclDevWorkColl.num_agpr, max(0, .L__assert_fail.num_agpr)
	.set .L_ZN12_GLOBAL__N_17runRingIh8FuncProdIhE11ProtoSimpleILi2ELi2ELi0ELi4ELi0ELi0EELi0ELi0ELi4ELi0EEEviiP15ncclDevWorkColl.numbered_sgpr, max(89, .L__assert_fail.numbered_sgpr)
	.set .L_ZN12_GLOBAL__N_17runRingIh8FuncProdIhE11ProtoSimpleILi2ELi2ELi0ELi4ELi0ELi0EELi0ELi0ELi4ELi0EEEviiP15ncclDevWorkColl.num_named_barrier, max(0, .L__assert_fail.num_named_barrier)
	.set .L_ZN12_GLOBAL__N_17runRingIh8FuncProdIhE11ProtoSimpleILi2ELi2ELi0ELi4ELi0ELi0EELi0ELi0ELi4ELi0EEEviiP15ncclDevWorkColl.private_seg_size, 304+max(.L__assert_fail.private_seg_size)
	.set .L_ZN12_GLOBAL__N_17runRingIh8FuncProdIhE11ProtoSimpleILi2ELi2ELi0ELi4ELi0ELi0EELi0ELi0ELi4ELi0EEEviiP15ncclDevWorkColl.uses_vcc, or(1, .L__assert_fail.uses_vcc)
	.set .L_ZN12_GLOBAL__N_17runRingIh8FuncProdIhE11ProtoSimpleILi2ELi2ELi0ELi4ELi0ELi0EELi0ELi0ELi4ELi0EEEviiP15ncclDevWorkColl.uses_flat_scratch, or(1, .L__assert_fail.uses_flat_scratch)
	.set .L_ZN12_GLOBAL__N_17runRingIh8FuncProdIhE11ProtoSimpleILi2ELi2ELi0ELi4ELi0ELi0EELi0ELi0ELi4ELi0EEEviiP15ncclDevWorkColl.has_dyn_sized_stack, or(0, .L__assert_fail.has_dyn_sized_stack)
	.set .L_ZN12_GLOBAL__N_17runRingIh8FuncProdIhE11ProtoSimpleILi2ELi2ELi0ELi4ELi0ELi0EELi0ELi0ELi4ELi0EEEviiP15ncclDevWorkColl.has_recursion, or(1, .L__assert_fail.has_recursion)
	.set .L_ZN12_GLOBAL__N_17runRingIh8FuncProdIhE11ProtoSimpleILi2ELi2ELi0ELi4ELi0ELi0EELi0ELi0ELi4ELi0EEEviiP15ncclDevWorkColl.has_indirect_call, or(0, .L__assert_fail.has_indirect_call)
	.section	.AMDGPU.csdata,"",@progbits
; Function info:
; codeLenInByte = 57756
; TotalNumSgprs: 91
; NumVgprs: 128
; ScratchSize: 368
; MemoryBound: 1
	.text
	.p2align	2                               ; -- Begin function _Z47ncclDevFunc_AllReduce_RING_SIMPLE_Prod_u8_0_0_4v
	.type	_Z47ncclDevFunc_AllReduce_RING_SIMPLE_Prod_u8_0_0_4v,@function
_Z47ncclDevFunc_AllReduce_RING_SIMPLE_Prod_u8_0_0_4v: ; @_Z47ncclDevFunc_AllReduce_RING_SIMPLE_Prod_u8_0_0_4v
; %bb.0:
	s_waitcnt vmcnt(0) expcnt(0) lgkmcnt(0)
	s_mov_b32 s94, s33
	s_mov_b32 s33, s32
	s_or_saveexec_b32 s4, -1
	buffer_store_dword v43, off, s[0:3], s33 offset:16 ; 4-byte Folded Spill
	s_mov_b32 exec_lo, s4
	s_addk_i32 s32, 0x400
	buffer_store_dword v40, off, s[0:3], s33 offset:12 ; 4-byte Folded Spill
	buffer_store_dword v41, off, s[0:3], s33 offset:8 ; 4-byte Folded Spill
	;; [unrolled: 1-line block ×3, first 2 shown]
	buffer_store_dword v127, off, s[0:3], s33 ; 4-byte Folded Spill
	v_writelane_b32 v43, s30, 0
	v_writelane_b32 v43, s31, 1
	s_trap 2
	ds_read_b32 v0, v0
	v_mov_b32_e32 v40, v31
	s_waitcnt lgkmcnt(0)
	v_cmp_gt_i32_e32 vcc_lo, 1, v0
	s_cbranch_vccnz .LBB7_8
; %bb.1:
	v_and_b32_e32 v41, 0x3ff, v40
	v_mov_b32_e32 v42, 5
	s_mov_b32 s89, s12
	s_mov_b64 s[90:91], s[8:9]
	s_mov_b32 s92, 0
	s_inst_prefetch 0x1
	s_branch .LBB7_3
	.p2align	6
.LBB7_2:                                ;   in Loop: Header=BB7_3 Depth=1
	s_or_b32 exec_lo, exec_lo, s93
	s_trap 2
	ds_read_b32 v0, v0
	s_add_i32 s92, s92, 1
	s_waitcnt lgkmcnt(0)
	v_cmp_lt_i32_e32 vcc_lo, s92, v0
	s_cbranch_vccz .LBB7_8
.LBB7_3:                                ; =>This Inner Loop Header: Depth=1
	s_trap 2
	ds_read_b32 v0, v0
	s_cmp_eq_u32 s92, 0
	s_cbranch_scc1 .LBB7_6
; %bb.4:                                ;   in Loop: Header=BB7_3 Depth=1
	s_trap 2
	s_waitcnt lgkmcnt(0)
	ds_read_b32 v1, v0
	s_waitcnt lgkmcnt(0)
	v_xor_b32_e32 v1, v1, v0
	v_and_b32_e32 v1, 0xff0000, v1
	v_cmp_eq_u32_e32 vcc_lo, 0, v1
	s_cbranch_vccnz .LBB7_6
; %bb.5:                                ;   in Loop: Header=BB7_3 Depth=1
	s_waitcnt_vscnt null, 0x0
	s_barrier
	buffer_gl0_inv
	ds_read_b32 v0, v0
.LBB7_6:                                ;   in Loop: Header=BB7_3 Depth=1
	s_waitcnt lgkmcnt(0)
	v_lshlrev_b32_sdwa v1, v42, v0 dst_sel:DWORD dst_unused:UNUSED_PAD src0_sel:DWORD src1_sel:BYTE_2
	s_mov_b32 s93, exec_lo
	v_cmpx_lt_u32_e64 v41, v1
	s_cbranch_execz .LBB7_2
; %bb.7:                                ;   in Loop: Header=BB7_3 Depth=1
	s_mov_b64 s[4:5], src_shared_base
	v_mov_b32_e32 v31, v40
	v_mov_b32_e32 v0, v41
	;; [unrolled: 1-line block ×3, first 2 shown]
	s_getpc_b64 s[6:7]
	s_add_u32 s6, s6, _ZN12_GLOBAL__N_17runRingIh8FuncProdIhE11ProtoSimpleILi2ELi2ELi0ELi4ELi0ELi0EELi0ELi0ELi4ELi0EEEviiP15ncclDevWorkColl@rel32@lo+4
	s_addc_u32 s7, s7, _ZN12_GLOBAL__N_17runRingIh8FuncProdIhE11ProtoSimpleILi2ELi2ELi0ELi4ELi0ELi0EELi0ELi0ELi4ELi0EEEviiP15ncclDevWorkColl@rel32@hi+12
	s_mov_b64 s[8:9], s[90:91]
	s_mov_b32 s12, s89
	s_swappc_b64 s[30:31], s[6:7]
	s_branch .LBB7_2
.LBB7_8:
	s_inst_prefetch 0x2
	s_clause 0x3
	buffer_load_dword v127, off, s[0:3], s33
	buffer_load_dword v42, off, s[0:3], s33 offset:4
	buffer_load_dword v41, off, s[0:3], s33 offset:8
	;; [unrolled: 1-line block ×3, first 2 shown]
	v_readlane_b32 s30, v43, 0
	v_readlane_b32 s31, v43, 1
	s_mov_b32 s32, s33
	s_or_saveexec_b32 s4, -1
	buffer_load_dword v43, off, s[0:3], s33 offset:16 ; 4-byte Folded Reload
	s_mov_b32 exec_lo, s4
	s_mov_b32 s33, s94
	s_waitcnt vmcnt(0)
	s_setpc_b64 s[30:31]
.Lfunc_end7:
	.size	_Z47ncclDevFunc_AllReduce_RING_SIMPLE_Prod_u8_0_0_4v, .Lfunc_end7-_Z47ncclDevFunc_AllReduce_RING_SIMPLE_Prod_u8_0_0_4v
                                        ; -- End function
	.set .L_Z47ncclDevFunc_AllReduce_RING_SIMPLE_Prod_u8_0_0_4v.num_vgpr, max(128, .L_ZN12_GLOBAL__N_17runRingIh8FuncProdIhE11ProtoSimpleILi2ELi2ELi0ELi4ELi0ELi0EELi0ELi0ELi4ELi0EEEviiP15ncclDevWorkColl.num_vgpr)
	.set .L_Z47ncclDevFunc_AllReduce_RING_SIMPLE_Prod_u8_0_0_4v.num_agpr, max(0, .L_ZN12_GLOBAL__N_17runRingIh8FuncProdIhE11ProtoSimpleILi2ELi2ELi0ELi4ELi0ELi0EELi0ELi0ELi4ELi0EEEviiP15ncclDevWorkColl.num_agpr)
	.set .L_Z47ncclDevFunc_AllReduce_RING_SIMPLE_Prod_u8_0_0_4v.numbered_sgpr, max(95, .L_ZN12_GLOBAL__N_17runRingIh8FuncProdIhE11ProtoSimpleILi2ELi2ELi0ELi4ELi0ELi0EELi0ELi0ELi4ELi0EEEviiP15ncclDevWorkColl.numbered_sgpr)
	.set .L_Z47ncclDevFunc_AllReduce_RING_SIMPLE_Prod_u8_0_0_4v.num_named_barrier, max(0, .L_ZN12_GLOBAL__N_17runRingIh8FuncProdIhE11ProtoSimpleILi2ELi2ELi0ELi4ELi0ELi0EELi0ELi0ELi4ELi0EEEviiP15ncclDevWorkColl.num_named_barrier)
	.set .L_Z47ncclDevFunc_AllReduce_RING_SIMPLE_Prod_u8_0_0_4v.private_seg_size, 32+max(.L_ZN12_GLOBAL__N_17runRingIh8FuncProdIhE11ProtoSimpleILi2ELi2ELi0ELi4ELi0ELi0EELi0ELi0ELi4ELi0EEEviiP15ncclDevWorkColl.private_seg_size)
	.set .L_Z47ncclDevFunc_AllReduce_RING_SIMPLE_Prod_u8_0_0_4v.uses_vcc, or(1, .L_ZN12_GLOBAL__N_17runRingIh8FuncProdIhE11ProtoSimpleILi2ELi2ELi0ELi4ELi0ELi0EELi0ELi0ELi4ELi0EEEviiP15ncclDevWorkColl.uses_vcc)
	.set .L_Z47ncclDevFunc_AllReduce_RING_SIMPLE_Prod_u8_0_0_4v.uses_flat_scratch, or(0, .L_ZN12_GLOBAL__N_17runRingIh8FuncProdIhE11ProtoSimpleILi2ELi2ELi0ELi4ELi0ELi0EELi0ELi0ELi4ELi0EEEviiP15ncclDevWorkColl.uses_flat_scratch)
	.set .L_Z47ncclDevFunc_AllReduce_RING_SIMPLE_Prod_u8_0_0_4v.has_dyn_sized_stack, or(0, .L_ZN12_GLOBAL__N_17runRingIh8FuncProdIhE11ProtoSimpleILi2ELi2ELi0ELi4ELi0ELi0EELi0ELi0ELi4ELi0EEEviiP15ncclDevWorkColl.has_dyn_sized_stack)
	.set .L_Z47ncclDevFunc_AllReduce_RING_SIMPLE_Prod_u8_0_0_4v.has_recursion, or(1, .L_ZN12_GLOBAL__N_17runRingIh8FuncProdIhE11ProtoSimpleILi2ELi2ELi0ELi4ELi0ELi0EELi0ELi0ELi4ELi0EEEviiP15ncclDevWorkColl.has_recursion)
	.set .L_Z47ncclDevFunc_AllReduce_RING_SIMPLE_Prod_u8_0_0_4v.has_indirect_call, or(0, .L_ZN12_GLOBAL__N_17runRingIh8FuncProdIhE11ProtoSimpleILi2ELi2ELi0ELi4ELi0ELi0EELi0ELi0ELi4ELi0EEEviiP15ncclDevWorkColl.has_indirect_call)
	.section	.AMDGPU.csdata,"",@progbits
; Function info:
; codeLenInByte = 476
; TotalNumSgprs: 97
; NumVgprs: 128
; ScratchSize: 400
; MemoryBound: 0
	.text
	.p2alignl 6, 3214868480
	.fill 48, 4, 3214868480
	.section	.AMDGPU.gpr_maximums,"",@progbits
	.set amdgpu.max_num_vgpr, 128
	.set amdgpu.max_num_agpr, 0
	.set amdgpu.max_num_sgpr, 95
	.text
	.type	__const.__assert_fail.fmt,@object ; @__const.__assert_fail.fmt
	.section	.rodata.str1.16,"aMS",@progbits,1
	.p2align	4, 0x0
__const.__assert_fail.fmt:
	.asciz	"%s:%u: %s: Device-side assertion `%s' failed.\n"
	.size	__const.__assert_fail.fmt, 47

	.type	.str.3,@object                  ; @.str.3
	.section	.rodata.str1.1,"aMS",@progbits,1
.str.3:
	.asciz	"2*(nrecv+nsend) <= nthreads"
	.size	.str.3, 28

	.type	.str.4,@object                  ; @.str.4
.str.4:
	.asciz	"/root/src/amdgpu-assembly/repos/ROCm__rccl/hipify/src/device/prims_simple.h"
	.size	.str.4, 76

	.type	__PRETTY_FUNCTION__._ZN10PrimitivesIh8FuncProdIhE12FanSymmetricILi1EELi0E11ProtoSimpleILi2ELi2ELi0ELi1ELi0ELi0EELi0ELb0ELi0ELi0ELi0EEC2EiiPKiS8_PKvPvmhhhP15ncclDevWorkCollP14ncclDevWorkP2pii,@object ; @__PRETTY_FUNCTION__._ZN10PrimitivesIh8FuncProdIhE12FanSymmetricILi1EELi0E11ProtoSimpleILi2ELi2ELi0ELi1ELi0ELi0EELi0ELb0ELi0ELi0ELi0EEC2EiiPKiS8_PKvPvmhhhP15ncclDevWorkCollP14ncclDevWorkP2pii
__PRETTY_FUNCTION__._ZN10PrimitivesIh8FuncProdIhE12FanSymmetricILi1EELi0E11ProtoSimpleILi2ELi2ELi0ELi1ELi0ELi0EELi0ELb0ELi0ELi0ELi0EEC2EiiPKiS8_PKvPvmhhhP15ncclDevWorkCollP14ncclDevWorkP2pii:
	.asciz	"Primitives<unsigned char, FuncProd<unsigned char>, FanSymmetric<1>, 0, ProtoSimple<2, 2, 0, 1>, 0>::Primitives(int, int, const int *, const int *, const void *, void *, uint64_t, uint8_t, uint8_t, uint8_t, struct ncclDevWorkColl *, struct ncclDevWorkP2p *, int, int) [T = unsigned char, RedOp = FuncProd<unsigned char>, Fan = FanSymmetric<1>, Direct = 0, Proto = ProtoSimple<2, 2, 0, 1>, P2p = 0, isNetOffload = false, Metadata = 0, Pipeline = 0, useAcc = 0]"
	.size	__PRETTY_FUNCTION__._ZN10PrimitivesIh8FuncProdIhE12FanSymmetricILi1EELi0E11ProtoSimpleILi2ELi2ELi0ELi1ELi0ELi0EELi0ELb0ELi0ELi0ELi0EEC2EiiPKiS8_PKvPvmhhhP15ncclDevWorkCollP14ncclDevWorkP2pii, 459

	.type	__PRETTY_FUNCTION__._ZN10PrimitivesIh8FuncProdIhE12FanSymmetricILi1EELi0E11ProtoSimpleILi2ELi2ELi0ELi2ELi0ELi0EELi0ELb0ELi0ELi0ELi0EEC2EiiPKiS8_PKvPvmhhhP15ncclDevWorkCollP14ncclDevWorkP2pii,@object ; @__PRETTY_FUNCTION__._ZN10PrimitivesIh8FuncProdIhE12FanSymmetricILi1EELi0E11ProtoSimpleILi2ELi2ELi0ELi2ELi0ELi0EELi0ELb0ELi0ELi0ELi0EEC2EiiPKiS8_PKvPvmhhhP15ncclDevWorkCollP14ncclDevWorkP2pii
__PRETTY_FUNCTION__._ZN10PrimitivesIh8FuncProdIhE12FanSymmetricILi1EELi0E11ProtoSimpleILi2ELi2ELi0ELi2ELi0ELi0EELi0ELb0ELi0ELi0ELi0EEC2EiiPKiS8_PKvPvmhhhP15ncclDevWorkCollP14ncclDevWorkP2pii:
	.asciz	"Primitives<unsigned char, FuncProd<unsigned char>, FanSymmetric<1>, 0, ProtoSimple<2, 2, 0, 2>, 0>::Primitives(int, int, const int *, const int *, const void *, void *, uint64_t, uint8_t, uint8_t, uint8_t, struct ncclDevWorkColl *, struct ncclDevWorkP2p *, int, int) [T = unsigned char, RedOp = FuncProd<unsigned char>, Fan = FanSymmetric<1>, Direct = 0, Proto = ProtoSimple<2, 2, 0, 2>, P2p = 0, isNetOffload = false, Metadata = 0, Pipeline = 0, useAcc = 0]"
	.size	__PRETTY_FUNCTION__._ZN10PrimitivesIh8FuncProdIhE12FanSymmetricILi1EELi0E11ProtoSimpleILi2ELi2ELi0ELi2ELi0ELi0EELi0ELb0ELi0ELi0ELi0EEC2EiiPKiS8_PKvPvmhhhP15ncclDevWorkCollP14ncclDevWorkP2pii, 459

	.type	__PRETTY_FUNCTION__._ZN10PrimitivesIh8FuncProdIhE12FanSymmetricILi1EELi0E11ProtoSimpleILi2ELi2ELi0ELi4ELi0ELi0EELi0ELb0ELi0ELi0ELi0EEC2EiiPKiS8_PKvPvmhhhP15ncclDevWorkCollP14ncclDevWorkP2pii,@object ; @__PRETTY_FUNCTION__._ZN10PrimitivesIh8FuncProdIhE12FanSymmetricILi1EELi0E11ProtoSimpleILi2ELi2ELi0ELi4ELi0ELi0EELi0ELb0ELi0ELi0ELi0EEC2EiiPKiS8_PKvPvmhhhP15ncclDevWorkCollP14ncclDevWorkP2pii
__PRETTY_FUNCTION__._ZN10PrimitivesIh8FuncProdIhE12FanSymmetricILi1EELi0E11ProtoSimpleILi2ELi2ELi0ELi4ELi0ELi0EELi0ELb0ELi0ELi0ELi0EEC2EiiPKiS8_PKvPvmhhhP15ncclDevWorkCollP14ncclDevWorkP2pii:
	.asciz	"Primitives<unsigned char, FuncProd<unsigned char>, FanSymmetric<1>, 0, ProtoSimple<2, 2, 0, 4>, 0>::Primitives(int, int, const int *, const int *, const void *, void *, uint64_t, uint8_t, uint8_t, uint8_t, struct ncclDevWorkColl *, struct ncclDevWorkP2p *, int, int) [T = unsigned char, RedOp = FuncProd<unsigned char>, Fan = FanSymmetric<1>, Direct = 0, Proto = ProtoSimple<2, 2, 0, 4>, P2p = 0, isNetOffload = false, Metadata = 0, Pipeline = 0, useAcc = 0]"
	.size	__PRETTY_FUNCTION__._ZN10PrimitivesIh8FuncProdIhE12FanSymmetricILi1EELi0E11ProtoSimpleILi2ELi2ELi0ELi4ELi0ELi0EELi0ELb0ELi0ELi0ELi0EEC2EiiPKiS8_PKvPvmhhhP15ncclDevWorkCollP14ncclDevWorkP2pii, 459

	.type	__hip_cuid_6ceab0dbb664075b,@object ; @__hip_cuid_6ceab0dbb664075b
	.section	.bss,"aw",@nobits
	.globl	__hip_cuid_6ceab0dbb664075b
__hip_cuid_6ceab0dbb664075b:
	.byte	0                               ; 0x0
	.size	__hip_cuid_6ceab0dbb664075b, 1

	.ident	"AMD clang version 22.0.0git (https://github.com/RadeonOpenCompute/llvm-project roc-7.2.4 26084 f58b06dce1f9c15707c5f808fd002e18c2accf7e)"
	.section	".note.GNU-stack","",@progbits
	.addrsig
	.addrsig_sym _Z47ncclDevFunc_AllReduce_RING_SIMPLE_Prod_u8_0_0_1v
	.addrsig_sym _Z47ncclDevFunc_AllReduce_RING_SIMPLE_Prod_u8_0_0_2v
	.addrsig_sym _Z47ncclDevFunc_AllReduce_RING_SIMPLE_Prod_u8_0_0_4v
	.addrsig_sym ncclShmem
	.addrsig_sym __hip_cuid_6ceab0dbb664075b
	.amdgpu_metadata
---
amdhsa.kernels:  []
amdhsa.target:   amdgcn-amd-amdhsa--gfx1030
amdhsa.version:
  - 1
  - 2
...

	.end_amdgpu_metadata
